;; amdgpu-corpus repo=ROCm/rocFFT kind=compiled arch=gfx950 opt=O3
	.text
	.amdgcn_target "amdgcn-amd-amdhsa--gfx950"
	.amdhsa_code_object_version 6
	.protected	fft_rtc_fwd_len1632_factors_17_2_2_3_8_wgs_102_tpt_102_halfLds_sp_op_CI_CI_unitstride_sbrr_dirReg ; -- Begin function fft_rtc_fwd_len1632_factors_17_2_2_3_8_wgs_102_tpt_102_halfLds_sp_op_CI_CI_unitstride_sbrr_dirReg
	.globl	fft_rtc_fwd_len1632_factors_17_2_2_3_8_wgs_102_tpt_102_halfLds_sp_op_CI_CI_unitstride_sbrr_dirReg
	.p2align	8
	.type	fft_rtc_fwd_len1632_factors_17_2_2_3_8_wgs_102_tpt_102_halfLds_sp_op_CI_CI_unitstride_sbrr_dirReg,@function
fft_rtc_fwd_len1632_factors_17_2_2_3_8_wgs_102_tpt_102_halfLds_sp_op_CI_CI_unitstride_sbrr_dirReg: ; @fft_rtc_fwd_len1632_factors_17_2_2_3_8_wgs_102_tpt_102_halfLds_sp_op_CI_CI_unitstride_sbrr_dirReg
; %bb.0:
	s_load_dwordx4 s[8:11], s[0:1], 0x58
	s_load_dwordx4 s[4:7], s[0:1], 0x0
	;; [unrolled: 1-line block ×3, first 2 shown]
	v_mul_u32_u24_e32 v1, 0x283, v0
	v_add_u32_sdwa v10, s2, v1 dst_sel:DWORD dst_unused:UNUSED_PAD src0_sel:DWORD src1_sel:WORD_1
	v_mov_b32_e32 v6, 0
	s_waitcnt lgkmcnt(0)
	v_cmp_lt_u64_e64 s[2:3], s[6:7], 2
	v_mov_b32_e32 v11, v6
	s_and_b64 vcc, exec, s[2:3]
	v_mov_b64_e32 v[8:9], 0
	s_cbranch_vccnz .LBB0_8
; %bb.1:
	s_load_dwordx2 s[2:3], s[0:1], 0x10
	s_add_u32 s16, s14, 8
	s_addc_u32 s17, s15, 0
	s_add_u32 s18, s12, 8
	s_addc_u32 s19, s13, 0
	s_waitcnt lgkmcnt(0)
	s_add_u32 s20, s2, 8
	v_mov_b64_e32 v[8:9], 0
	s_addc_u32 s21, s3, 0
	s_mov_b64 s[22:23], 1
	v_mov_b64_e32 v[2:3], v[8:9]
.LBB0_2:                                ; =>This Inner Loop Header: Depth=1
	s_load_dwordx2 s[24:25], s[20:21], 0x0
                                        ; implicit-def: $vgpr4_vgpr5
	s_waitcnt lgkmcnt(0)
	v_or_b32_e32 v7, s25, v11
	v_cmp_ne_u64_e32 vcc, 0, v[6:7]
	s_and_saveexec_b64 s[2:3], vcc
	s_xor_b64 s[26:27], exec, s[2:3]
	s_cbranch_execz .LBB0_4
; %bb.3:                                ;   in Loop: Header=BB0_2 Depth=1
	v_cvt_f32_u32_e32 v1, s24
	v_cvt_f32_u32_e32 v4, s25
	s_sub_u32 s2, 0, s24
	s_subb_u32 s3, 0, s25
	v_fmac_f32_e32 v1, 0x4f800000, v4
	v_rcp_f32_e32 v1, v1
	s_nop 0
	v_mul_f32_e32 v1, 0x5f7ffffc, v1
	v_mul_f32_e32 v4, 0x2f800000, v1
	v_trunc_f32_e32 v4, v4
	v_fmac_f32_e32 v1, 0xcf800000, v4
	v_cvt_u32_f32_e32 v7, v4
	v_cvt_u32_f32_e32 v1, v1
	v_mul_lo_u32 v4, s2, v7
	v_mul_hi_u32 v12, s2, v1
	v_mul_lo_u32 v5, s3, v1
	v_add_u32_e32 v12, v12, v4
	v_mul_lo_u32 v14, s2, v1
	v_add_u32_e32 v15, v12, v5
	v_mul_hi_u32 v4, v1, v14
	v_mul_hi_u32 v13, v1, v15
	v_mul_lo_u32 v12, v1, v15
	v_mov_b32_e32 v5, v6
	v_lshl_add_u64 v[4:5], v[4:5], 0, v[12:13]
	v_mul_hi_u32 v13, v7, v14
	v_mul_lo_u32 v14, v7, v14
	v_add_co_u32_e32 v4, vcc, v4, v14
	v_mul_hi_u32 v12, v7, v15
	s_nop 0
	v_addc_co_u32_e32 v4, vcc, v5, v13, vcc
	v_mov_b32_e32 v5, v6
	s_nop 0
	v_addc_co_u32_e32 v13, vcc, 0, v12, vcc
	v_mul_lo_u32 v12, v7, v15
	v_lshl_add_u64 v[4:5], v[4:5], 0, v[12:13]
	v_add_co_u32_e32 v1, vcc, v1, v4
	v_mul_lo_u32 v12, s2, v1
	s_nop 0
	v_addc_co_u32_e32 v7, vcc, v7, v5, vcc
	v_mul_lo_u32 v4, s2, v7
	v_mul_hi_u32 v5, s2, v1
	v_add_u32_e32 v4, v5, v4
	v_mul_lo_u32 v5, s3, v1
	v_add_u32_e32 v14, v4, v5
	v_mul_hi_u32 v16, v7, v12
	v_mul_lo_u32 v17, v7, v12
	v_mul_hi_u32 v5, v1, v14
	v_mul_lo_u32 v4, v1, v14
	v_mul_hi_u32 v12, v1, v12
	v_mov_b32_e32 v13, v6
	v_lshl_add_u64 v[4:5], v[12:13], 0, v[4:5]
	v_add_co_u32_e32 v4, vcc, v4, v17
	v_mul_hi_u32 v15, v7, v14
	s_nop 0
	v_addc_co_u32_e32 v4, vcc, v5, v16, vcc
	v_mul_lo_u32 v12, v7, v14
	s_nop 0
	v_addc_co_u32_e32 v13, vcc, 0, v15, vcc
	v_mov_b32_e32 v5, v6
	v_lshl_add_u64 v[4:5], v[4:5], 0, v[12:13]
	v_add_co_u32_e32 v1, vcc, v1, v4
	v_mul_hi_u32 v12, v10, v1
	s_nop 0
	v_addc_co_u32_e32 v7, vcc, v7, v5, vcc
	v_mad_u64_u32 v[4:5], s[2:3], v10, v7, 0
	v_mov_b32_e32 v13, v6
	v_lshl_add_u64 v[4:5], v[12:13], 0, v[4:5]
	v_mad_u64_u32 v[14:15], s[2:3], v11, v1, 0
	v_add_co_u32_e32 v1, vcc, v4, v14
	v_mad_u64_u32 v[12:13], s[2:3], v11, v7, 0
	s_nop 0
	v_addc_co_u32_e32 v4, vcc, v5, v15, vcc
	v_mov_b32_e32 v5, v6
	s_nop 0
	v_addc_co_u32_e32 v13, vcc, 0, v13, vcc
	v_lshl_add_u64 v[4:5], v[4:5], 0, v[12:13]
	v_mul_lo_u32 v1, s25, v4
	v_mul_lo_u32 v7, s24, v5
	v_mad_u64_u32 v[12:13], s[2:3], s24, v4, 0
	v_add3_u32 v1, v13, v7, v1
	v_sub_u32_e32 v7, v11, v1
	v_mov_b32_e32 v13, s25
	v_sub_co_u32_e32 v16, vcc, v10, v12
	v_lshl_add_u64 v[14:15], v[4:5], 0, 1
	s_nop 0
	v_subb_co_u32_e64 v7, s[2:3], v7, v13, vcc
	v_subrev_co_u32_e64 v12, s[2:3], s24, v16
	v_subb_co_u32_e32 v1, vcc, v11, v1, vcc
	s_nop 0
	v_subbrev_co_u32_e64 v7, s[2:3], 0, v7, s[2:3]
	v_cmp_le_u32_e64 s[2:3], s25, v7
	v_cmp_le_u32_e32 vcc, s25, v1
	s_nop 0
	v_cndmask_b32_e64 v13, 0, -1, s[2:3]
	v_cmp_le_u32_e64 s[2:3], s24, v12
	s_nop 1
	v_cndmask_b32_e64 v12, 0, -1, s[2:3]
	v_cmp_eq_u32_e64 s[2:3], s25, v7
	s_nop 1
	v_cndmask_b32_e64 v7, v13, v12, s[2:3]
	v_lshl_add_u64 v[12:13], v[4:5], 0, 2
	v_cmp_ne_u32_e64 s[2:3], 0, v7
	s_nop 1
	v_cndmask_b32_e64 v7, v15, v13, s[2:3]
	v_cndmask_b32_e64 v13, 0, -1, vcc
	v_cmp_le_u32_e32 vcc, s24, v16
	s_nop 1
	v_cndmask_b32_e64 v15, 0, -1, vcc
	v_cmp_eq_u32_e32 vcc, s25, v1
	s_nop 1
	v_cndmask_b32_e32 v1, v13, v15, vcc
	v_cmp_ne_u32_e32 vcc, 0, v1
	v_cndmask_b32_e64 v1, v14, v12, s[2:3]
	s_nop 0
	v_cndmask_b32_e32 v5, v5, v7, vcc
	v_cndmask_b32_e32 v4, v4, v1, vcc
.LBB0_4:                                ;   in Loop: Header=BB0_2 Depth=1
	s_andn2_saveexec_b64 s[2:3], s[26:27]
	s_cbranch_execz .LBB0_6
; %bb.5:                                ;   in Loop: Header=BB0_2 Depth=1
	v_cvt_f32_u32_e32 v1, s24
	s_sub_i32 s26, 0, s24
	v_rcp_iflag_f32_e32 v1, v1
	s_nop 0
	v_mul_f32_e32 v1, 0x4f7ffffe, v1
	v_cvt_u32_f32_e32 v1, v1
	v_mul_lo_u32 v4, s26, v1
	v_mul_hi_u32 v4, v1, v4
	v_add_u32_e32 v1, v1, v4
	v_mul_hi_u32 v1, v10, v1
	v_mul_lo_u32 v4, v1, s24
	v_sub_u32_e32 v4, v10, v4
	v_add_u32_e32 v5, 1, v1
	v_subrev_u32_e32 v7, s24, v4
	v_cmp_le_u32_e32 vcc, s24, v4
	s_nop 1
	v_cndmask_b32_e32 v4, v4, v7, vcc
	v_cndmask_b32_e32 v1, v1, v5, vcc
	v_add_u32_e32 v5, 1, v1
	v_cmp_le_u32_e32 vcc, s24, v4
	s_nop 1
	v_cndmask_b32_e32 v4, v1, v5, vcc
	v_mov_b32_e32 v5, v6
.LBB0_6:                                ;   in Loop: Header=BB0_2 Depth=1
	s_or_b64 exec, exec, s[2:3]
	v_mad_u64_u32 v[12:13], s[2:3], v4, s24, 0
	s_load_dwordx2 s[2:3], s[18:19], 0x0
	v_mul_lo_u32 v1, v5, s24
	v_mul_lo_u32 v7, v4, s25
	s_load_dwordx2 s[24:25], s[16:17], 0x0
	s_add_u32 s22, s22, 1
	v_add3_u32 v1, v13, v7, v1
	v_sub_co_u32_e32 v7, vcc, v10, v12
	s_addc_u32 s23, s23, 0
	s_nop 0
	v_subb_co_u32_e32 v1, vcc, v11, v1, vcc
	s_add_u32 s16, s16, 8
	s_waitcnt lgkmcnt(0)
	v_mul_lo_u32 v10, s2, v1
	v_mul_lo_u32 v11, s3, v7
	v_mad_u64_u32 v[8:9], s[2:3], s2, v7, v[8:9]
	s_addc_u32 s17, s17, 0
	v_add3_u32 v9, v11, v9, v10
	v_mul_lo_u32 v1, s24, v1
	v_mul_lo_u32 v10, s25, v7
	v_mad_u64_u32 v[2:3], s[2:3], s24, v7, v[2:3]
	s_add_u32 s18, s18, 8
	v_add3_u32 v3, v10, v3, v1
	s_addc_u32 s19, s19, 0
	v_mov_b64_e32 v[10:11], s[6:7]
	s_add_u32 s20, s20, 8
	v_cmp_ge_u64_e32 vcc, s[22:23], v[10:11]
	s_addc_u32 s21, s21, 0
	s_cbranch_vccnz .LBB0_9
; %bb.7:                                ;   in Loop: Header=BB0_2 Depth=1
	v_mov_b64_e32 v[10:11], v[4:5]
	s_branch .LBB0_2
.LBB0_8:
	v_mov_b64_e32 v[2:3], v[8:9]
	v_mov_b64_e32 v[4:5], v[10:11]
.LBB0_9:
	s_load_dwordx2 s[0:1], s[0:1], 0x28
	s_mov_b32 s16, 0x2828283
	v_mul_hi_u32 v1, v0, s16
	v_mul_u32_u24_e32 v1, 0x66, v1
	s_lshl_b64 s[2:3], s[6:7], 3
	s_waitcnt lgkmcnt(0)
	v_cmp_gt_u64_e32 vcc, s[0:1], v[4:5]
	v_sub_u32_e32 v0, v0, v1
	s_movk_i32 s0, 0x60
	s_add_u32 s6, s14, s2
	v_cmp_gt_u32_e64 s[0:1], s0, v0
	s_addc_u32 s7, s15, s3
	s_and_b64 s[16:17], vcc, s[0:1]
	v_mov_b32_e32 v7, 0
	v_mov_b32_e32 v31, 0
                                        ; implicit-def: $vgpr32
                                        ; implicit-def: $vgpr34
                                        ; implicit-def: $vgpr42
                                        ; implicit-def: $vgpr44
                                        ; implicit-def: $vgpr40
                                        ; implicit-def: $vgpr38
                                        ; implicit-def: $vgpr36
                                        ; implicit-def: $vgpr20
                                        ; implicit-def: $vgpr18
                                        ; implicit-def: $vgpr22
                                        ; implicit-def: $vgpr28
                                        ; implicit-def: $vgpr24
                                        ; implicit-def: $vgpr26
                                        ; implicit-def: $vgpr14
                                        ; implicit-def: $vgpr16
	s_and_saveexec_b64 s[14:15], s[16:17]
	s_cbranch_execz .LBB0_11
; %bb.10:
	s_add_u32 s2, s12, s2
	s_addc_u32 s3, s13, s3
	s_load_dwordx2 s[2:3], s[2:3], 0x0
	v_mov_b32_e32 v1, 0
	v_or_b32_e32 v14, 0x300, v0
	v_mov_b32_e32 v15, v1
	s_waitcnt lgkmcnt(0)
	v_mul_lo_u32 v10, s3, v4
	v_mul_lo_u32 v11, s2, v5
	v_mad_u64_u32 v[6:7], s[2:3], s2, v4, 0
	v_add3_u32 v7, v7, v11, v10
	v_lshl_add_u64 v[6:7], v[6:7], 3, s[8:9]
	v_lshl_add_u64 v[6:7], v[8:9], 3, v[6:7]
	v_lshl_add_u64 v[8:9], v[0:1], 3, v[6:7]
	s_movk_i32 s2, 0x1000
	v_add_co_u32_e64 v12, s[2:3], s2, v8
	global_load_dwordx2 v[10:11], v[8:9], off
	global_load_dwordx2 v[32:33], v[8:9], off offset:768
	global_load_dwordx2 v[34:35], v[8:9], off offset:1536
	;; [unrolled: 1-line block ×3, first 2 shown]
	v_addc_co_u32_e64 v13, s[2:3], 0, v9, s[2:3]
	s_movk_i32 s2, 0x2000
	global_load_dwordx2 v[44:45], v[8:9], off offset:3072
	global_load_dwordx2 v[40:41], v[8:9], off offset:3840
	;; [unrolled: 1-line block ×4, first 2 shown]
	v_add_co_u32_e64 v8, s[2:3], s2, v8
	v_lshl_add_u64 v[14:15], v[14:15], 3, v[6:7]
	s_nop 0
	v_addc_co_u32_e64 v9, s[2:3], 0, v9, s[2:3]
	global_load_dwordx2 v[30:31], v[12:13], off offset:2816
	global_load_dwordx2 v[22:23], v[8:9], off offset:256
	global_load_dwordx2 v[20:21], v[14:15], off
	global_load_dwordx2 v[18:19], v[12:13], off offset:3584
	v_or_b32_e32 v12, 0x480, v0
	v_mov_b32_e32 v13, v1
	v_or_b32_e32 v14, 0x600, v0
	v_mov_b32_e32 v15, v1
	v_lshl_add_u64 v[12:13], v[12:13], 3, v[6:7]
	v_lshl_add_u64 v[6:7], v[14:15], 3, v[6:7]
	global_load_dwordx2 v[24:25], v[8:9], off offset:1792
	global_load_dwordx2 v[26:27], v[8:9], off offset:2560
	global_load_dwordx2 v[14:15], v[6:7], off
	global_load_dwordx2 v[28:29], v[12:13], off
	global_load_dwordx2 v[16:17], v[8:9], off offset:3328
	s_waitcnt vmcnt(16)
	v_mov_b32_e32 v7, v11
	s_waitcnt vmcnt(8)
	v_mov_b32_e32 v6, v31
	v_mov_b32_e32 v31, v10
.LBB0_11:
	s_or_b64 exec, exec, s[14:15]
	s_waitcnt vmcnt(2)
	v_pk_add_f32 v[58:59], v[32:33], v[14:15]
	v_pk_add_f32 v[46:47], v[32:33], v[14:15] neg_lo:[0,1] neg_hi:[0,1]
	v_mul_f32_e32 v80, 0x3f6eb680, v58
	s_waitcnt vmcnt(0)
	v_pk_add_f32 v[60:61], v[34:35], v[16:17]
	v_fmamk_f32 v1, v47, 0xbeb8f4ab, v80
	v_pk_add_f32 v[10:11], v[34:35], v[16:17] neg_lo:[0,1] neg_hi:[0,1]
	v_mul_f32_e32 v78, 0x3f3d2fb0, v60
	v_pk_add_f32 v[62:63], v[42:43], v[26:27]
	v_add_f32_e32 v1, v31, v1
	v_fmamk_f32 v8, v11, 0xbf2c7751, v78
	v_pk_add_f32 v[48:49], v[42:43], v[26:27] neg_lo:[0,1] neg_hi:[0,1]
	v_mul_f32_e32 v79, 0x3ee437d1, v62
	v_pk_add_f32 v[64:65], v[44:45], v[24:25]
	v_add_f32_e32 v1, v1, v8
	;; [unrolled: 5-line block ×4, first 2 shown]
	v_fmamk_f32 v8, v53, 0xbf763a35, v82
	v_mul_f32_e32 v83, 0xbf1a4643, v68
	v_pk_add_f32 v[54:55], v[38:39], v[22:23] neg_lo:[0,1] neg_hi:[0,1]
	v_add_f32_e32 v1, v8, v1
	v_fmamk_f32 v8, v55, 0xbf4c4adb, v83
	v_add_f32_e32 v1, v8, v1
	v_pk_add_f32 v[8:9], v[36:37], v[18:19]
	v_pk_add_f32 v[12:13], v[36:37], v[18:19] neg_lo:[0,1] neg_hi:[0,1]
	v_mul_f32_e32 v84, 0xbf59a7d5, v8
	v_fmamk_f32 v56, v13, 0xbf06c442, v84
	v_add_f32_e32 v1, v56, v1
	v_mov_b32_e32 v56, v21
	v_pk_add_f32 v[70:71], v[20:21], v[30:31]
	v_pk_add_f32 v[56:57], v[56:57], v[6:7] op_sel_hi:[0,1] neg_lo:[0,1] neg_hi:[0,1]
	v_mul_f32_e32 v85, 0xbf7ba420, v70
	v_fmamk_f32 v72, v56, 0xbe3c28d5, v85
	s_mov_b32 s12, 0x3f3d2fb0
	s_mov_b32 s20, 0x3ee437d1
	;; [unrolled: 1-line block ×7, first 2 shown]
	v_add_f32_e32 v1, v72, v1
	s_mov_b32 s26, 0x3f6eb680
	s_mov_b32 s24, 0xbeb8f4ab
	;; [unrolled: 1-line block ×9, first 2 shown]
	s_and_saveexec_b64 s[22:23], s[0:1]
	s_cbranch_execz .LBB0_13
; %bb.12:
	s_mov_b32 s36, s14
	s_mov_b32 s37, s8
	;; [unrolled: 1-line block ×7, first 2 shown]
	v_pk_mul_f32 v[74:75], v[58:59], s[36:37] op_sel_hi:[0,1]
	s_mov_b32 s29, 0x3f65296c
	s_mov_b32 s27, s18
	v_pk_mul_f32 v[76:77], v[60:61], s[38:39] op_sel_hi:[0,1]
	v_pk_fma_f32 v[86:87], v[46:47], s[34:35], v[74:75] op_sel:[1,0,0]
	v_pk_mul_f32 v[72:73], v[62:63], s[26:27] op_sel_hi:[0,1]
	s_mov_b32 s25, s19
	v_pk_add_f32 v[86:87], v[30:31], v[86:87] op_sel:[1,0]
	v_pk_fma_f32 v[88:89], v[10:11], s[28:29], v[76:77] op_sel:[1,0,0]
	s_mov_b32 s36, s8
	s_mov_b32 s37, s14
	v_pk_add_f32 v[86:87], v[86:87], v[88:89]
	v_pk_fma_f32 v[88:89], v[48:49], s[24:25], v[72:73] op_sel:[1,0,0]
	s_mov_b32 s31, 0x3f4c4adb
	s_mov_b32 s30, s9
	v_pk_add_f32 v[86:87], v[88:89], v[86:87]
	v_pk_mul_f32 v[88:89], v[64:65], s[36:37] op_sel_hi:[0,1]
	v_pk_fma_f32 v[90:91], v[50:51], s[30:31], v[88:89] op_sel:[1,0,0]
	s_mov_b32 s38, s18
	s_mov_b32 s39, s26
	v_pk_add_f32 v[86:87], v[90:91], v[86:87]
	s_mov_b32 s36, 0x3f7ee86f
	s_mov_b32 s37, s24
	v_pk_mul_f32 v[90:91], v[66:67], s[38:39] op_sel_hi:[0,1]
	v_pk_fma_f32 v[92:93], v[52:53], s[36:37], v[90:91] op_sel:[1,0,0]
	s_mov_b32 s38, s12
	s_mov_b32 s39, s2
	v_pk_add_f32 v[86:87], v[92:93], v[86:87]
	s_mov_b32 s42, s13
	s_mov_b32 s43, s3
	;; [unrolled: 7-line block ×4, first 2 shown]
	v_pk_mul_f32 v[96:97], v[70:71], s[38:39] op_sel_hi:[0,1]
	v_pk_fma_f32 v[98:99], v[56:57], s[50:51], v[96:97] op_sel_hi:[0,1,1]
	s_movk_i32 s27, 0x44
	v_pk_add_f32 v[86:87], v[98:99], v[86:87]
	v_mad_u32_u24 v124, v0, s27, 0
	ds_write2_b32 v124, v87, v86 offset0:10 offset1:11
	v_mul_f32_e32 v86, 0xbeb8f4ab, v47
	v_sub_f32_e32 v98, v80, v86
	v_mov_b32_e32 v80, v31
	v_pk_add_f32 v[86:87], v[80:81], v[32:33]
	v_mov_b32_e32 v80, v28
	v_pk_add_f32 v[86:87], v[86:87], v[34:35]
	s_mov_b32 s46, s12
	v_pk_add_f32 v[86:87], v[86:87], v[42:43]
	s_mov_b32 s47, s20
	;; [unrolled: 2-line block ×5, first 2 shown]
	v_pk_add_f32 v[86:87], v[86:87], v[36:37]
	v_mul_f32_e32 v36, 0xbf2c7751, v11
	v_pk_add_f32 v[86:87], v[86:87], v[20:21]
	v_sub_f32_e32 v99, v78, v36
	v_mov_b32_e32 v87, v98
	v_pk_add_f32 v[86:87], v[86:87], v[30:31]
	v_mov_b32_e32 v98, v18
	v_mul_f32_e32 v18, 0xbf65296c, v49
	v_pk_add_f32 v[86:87], v[86:87], v[98:99]
	v_sub_f32_e32 v79, v79, v18
	v_mov_b32_e32 v78, v22
	v_mul_f32_e32 v18, 0xbf7ee86f, v51
	v_pk_add_f32 v[78:79], v[86:87], v[78:79]
	v_sub_f32_e32 v81, v81, v18
	v_mul_f32_e32 v18, 0xbf763a35, v53
	v_pk_add_f32 v[78:79], v[78:79], v[80:81]
	v_sub_f32_e32 v81, v82, v18
	v_mov_b32_e32 v80, v24
	v_mul_f32_e32 v18, 0xbf4c4adb, v55
	v_pk_add_f32 v[78:79], v[78:79], v[80:81]
	v_sub_f32_e32 v81, v83, v18
	v_mov_b32_e32 v80, v26
	;; [unrolled: 4-line block ×4, first 2 shown]
	v_pk_add_f32 v[78:79], v[80:81], v[78:79]
	ds_write2_b32 v124, v78, v79 offset1:1
	s_mov_b32 s49, s14
	v_pk_mul_f32 v[78:79], v[58:59], s[46:47] op_sel_hi:[0,1]
	s_mov_b32 s40, s19
	s_mov_b32 s41, s15
	v_pk_fma_f32 v[80:81], v[46:47], s[38:39], v[78:79] op_sel:[1,0,0] neg_lo:[1,0,0] neg_hi:[1,0,0]
	v_pk_mul_f32 v[82:83], v[60:61], s[48:49] op_sel_hi:[0,1]
	v_pk_add_f32 v[80:81], v[30:31], v[80:81] op_sel:[1,0]
	v_pk_fma_f32 v[84:85], v[10:11], s[40:41], v[82:83] op_sel:[1,0,0] neg_lo:[1,0,0] neg_hi:[1,0,0]
	s_mov_b32 s48, s14
	s_mov_b32 s49, s2
	v_pk_add_f32 v[80:81], v[80:81], v[84:85]
	s_mov_b32 s47, 0x3e3c28d5
	s_mov_b32 s46, s15
	v_pk_mul_f32 v[84:85], v[62:63], s[48:49] op_sel_hi:[0,1]
	v_pk_fma_f32 v[86:87], v[48:49], s[46:47], v[84:85] op_sel:[1,0,0] neg_lo:[1,0,0] neg_hi:[1,0,0]
	s_mov_b32 s52, s2
	s_mov_b32 s53, s16
	v_pk_add_f32 v[80:81], v[86:87], v[80:81]
	s_mov_b32 s48, s3
	s_mov_b32 s49, s28
	v_pk_mul_f32 v[86:87], v[64:65], s[52:53] op_sel_hi:[0,1]
	v_pk_fma_f32 v[98:99], v[50:51], s[48:49], v[86:87] op_sel:[1,0,0] neg_lo:[1,0,0] neg_hi:[1,0,0]
	s_mov_b32 s61, 0x3f06c442
	s_mov_b32 s54, s8
	;; [unrolled: 1-line block ×3, first 2 shown]
	v_pk_add_f32 v[80:81], v[98:99], v[80:81]
	s_mov_b32 s52, s61
	s_mov_b32 s53, s45
	v_pk_mul_f32 v[98:99], v[66:67], s[54:55] op_sel_hi:[0,1]
	v_pk_fma_f32 v[100:101], v[52:53], s[52:53], v[98:99] op_sel:[1,0,0] neg_lo:[1,0,0] neg_hi:[1,0,0]
	s_mov_b32 s56, s16
	s_mov_b32 s57, s26
	v_pk_fma_f32 v[74:75], v[46:47], s[34:35], v[74:75] op_sel:[1,0,0] neg_lo:[1,0,0] neg_hi:[1,0,0]
	v_pk_add_f32 v[80:81], v[100:101], v[80:81]
	s_mov_b32 s54, s28
	s_mov_b32 s55, s24
	v_pk_mul_f32 v[100:101], v[68:69], s[56:57] op_sel_hi:[0,1]
	v_pk_add_f32 v[74:75], v[30:31], v[74:75] op_sel:[1,0]
	v_pk_fma_f32 v[76:77], v[10:11], s[28:29], v[76:77] op_sel:[1,0,0] neg_lo:[1,0,0] neg_hi:[1,0,0]
	v_pk_fma_f32 v[102:103], v[54:55], s[54:55], v[100:101] op_sel:[1,0,0] neg_lo:[1,0,0] neg_hi:[1,0,0]
	s_mov_b32 s58, s20
	s_mov_b32 s59, s18
	v_pk_add_f32 v[74:75], v[74:75], v[76:77]
	v_pk_fma_f32 v[72:73], v[48:49], s[24:25], v[72:73] op_sel:[1,0,0] neg_lo:[1,0,0] neg_hi:[1,0,0]
	v_pk_add_f32 v[80:81], v[102:103], v[80:81]
	s_mov_b32 s56, s29
	s_mov_b32 s57, s19
	v_pk_mul_f32 v[102:103], v[8:9], s[58:59] op_sel_hi:[0,1]
	v_pk_add_f32 v[72:73], v[72:73], v[74:75]
	v_pk_fma_f32 v[74:75], v[50:51], s[30:31], v[88:89] op_sel:[1,0,0] neg_lo:[1,0,0] neg_hi:[1,0,0]
	v_pk_fma_f32 v[104:105], v[12:13], s[56:57], v[102:103] op_sel:[1,0,0] neg_lo:[1,0,0] neg_hi:[1,0,0]
	s_mov_b32 s27, s20
	v_pk_add_f32 v[72:73], v[74:75], v[72:73]
	v_pk_fma_f32 v[74:75], v[52:53], s[36:37], v[90:91] op_sel:[1,0,0] neg_lo:[1,0,0] neg_hi:[1,0,0]
	v_pk_add_f32 v[80:81], v[104:105], v[80:81]
	s_mov_b32 s62, 0x3eb8f4ab
	v_pk_mul_f32 v[104:105], v[64:65], s[26:27] op_sel_hi:[0,1]
	s_mov_b32 s27, s8
	v_pk_add_f32 v[72:73], v[74:75], v[72:73]
	v_pk_fma_f32 v[74:75], v[54:55], s[42:43], v[92:93] op_sel:[1,0,0] neg_lo:[1,0,0] neg_hi:[1,0,0]
	s_mov_b32 s58, s62
	s_mov_b32 s59, s9
	v_pk_mul_f32 v[106:107], v[70:71], s[26:27] op_sel_hi:[0,1]
	v_pk_add_f32 v[72:73], v[74:75], v[72:73]
	v_pk_fma_f32 v[74:75], v[12:13], s[44:45], v[94:95] op_sel:[1,0,0] neg_lo:[1,0,0] neg_hi:[1,0,0]
	v_pk_fma_f32 v[108:109], v[56:57], s[58:59], v[106:107] op_sel_hi:[0,1,1] neg_lo:[1,0,0] neg_hi:[1,0,0]
	v_pk_add_f32 v[72:73], v[74:75], v[72:73]
	v_pk_fma_f32 v[74:75], v[56:57], s[50:51], v[96:97] op_sel_hi:[0,1,1] neg_lo:[1,0,0] neg_hi:[1,0,0]
	v_pk_add_f32 v[80:81], v[108:109], v[80:81]
	s_mov_b32 s66, s18
	s_mov_b32 s67, s16
	v_pk_add_f32 v[72:73], v[74:75], v[72:73]
	v_mul_f32_e32 v16, 0xbf7ba420, v58
	v_mul_f32_e32 v18, 0xbe3c28d5, v47
	ds_write2_b32 v124, v80, v81 offset0:2 offset1:3
	s_mov_b32 s64, s19
	s_mov_b32 s65, s17
	s_mov_b32 s68, s2
	s_mov_b32 s69, s8
	v_pk_mul_f32 v[80:81], v[58:59], s[66:67] op_sel_hi:[0,1]
	ds_write2_b32 v124, v72, v73 offset0:6 offset1:7
	v_pk_add_f32 v[58:59], v[16:17], v[18:19] neg_lo:[0,1] neg_hi:[0,1]
	v_pk_add_f32 v[72:73], v[16:17], v[18:19]
	v_mul_f32_e32 v16, 0x3f6eb680, v60
	v_mul_f32_e32 v18, 0x3eb8f4ab, v11
	s_mov_b32 s60, s3
	v_pk_fma_f32 v[108:109], v[46:47], s[64:65], v[80:81] op_sel:[1,0,0] neg_lo:[1,0,0] neg_hi:[1,0,0]
	v_pk_mul_f32 v[110:111], v[60:61], s[68:69] op_sel_hi:[0,1]
	v_mov_b32_e32 v59, v72
	v_pk_add_f32 v[60:61], v[16:17], v[18:19] neg_lo:[0,1] neg_hi:[0,1]
	v_pk_add_f32 v[72:73], v[16:17], v[18:19]
	v_pk_add_f32 v[108:109], v[30:31], v[108:109] op_sel:[1,0]
	v_pk_fma_f32 v[112:113], v[10:11], s[60:61], v[110:111] op_sel:[1,0,0] neg_lo:[1,0,0] neg_hi:[1,0,0]
	s_mov_b32 s68, s16
	s_mov_b32 s69, s12
	v_mov_b32_e32 v61, v72
	v_pk_add_f32 v[58:59], v[30:31], v[58:59] op_sel:[1,0]
	v_mul_f32_e32 v16, 0xbf59a7d5, v62
	v_mul_f32_e32 v18, 0xbf06c442, v49
	v_pk_add_f32 v[108:109], v[108:109], v[112:113]
	v_pk_mul_f32 v[112:113], v[62:63], s[68:69] op_sel_hi:[0,1]
	v_pk_add_f32 v[58:59], v[58:59], v[60:61]
	v_pk_add_f32 v[60:61], v[16:17], v[18:19] neg_lo:[0,1] neg_hi:[0,1]
	v_pk_add_f32 v[62:63], v[16:17], v[18:19]
	v_mul_f32_e32 v16, 0x3f3d2fb0, v64
	v_mov_b32_e32 v61, v62
	v_mul_f32_e32 v18, 0x3f2c7751, v51
	v_pk_add_f32 v[58:59], v[60:61], v[58:59]
	v_pk_add_f32 v[60:61], v[16:17], v[18:19] neg_lo:[0,1] neg_hi:[0,1]
	v_pk_add_f32 v[62:63], v[16:17], v[18:19]
	v_mul_f32_e32 v16, 0xbf1a4643, v66
	v_mov_b32_e32 v61, v62
	v_mul_f32_e32 v18, 0xbf4c4adb, v53
	;; [unrolled: 6-line block ×5, first 2 shown]
	s_mov_b32 s66, s28
	s_mov_b32 s67, s45
	v_pk_add_f32 v[58:59], v[60:61], v[58:59]
	v_pk_add_f32 v[60:61], v[16:17], v[18:19] neg_lo:[0,1] neg_hi:[0,1]
	v_pk_add_f32 v[62:63], v[16:17], v[18:19]
	v_pk_fma_f32 v[114:115], v[48:49], s[66:67], v[112:113] op_sel:[1,0,0] neg_lo:[1,0,0] neg_hi:[1,0,0]
	s_mov_b32 s63, s21
	v_mov_b32_e32 v61, v62
	v_pk_add_f32 v[108:109], v[114:115], v[108:109]
	v_pk_fma_f32 v[114:115], v[50:51], s[62:63], v[104:105] op_sel:[1,0,0] neg_lo:[1,0,0] neg_hi:[1,0,0]
	s_mov_b32 s70, s20
	s_mov_b32 s71, s2
	v_pk_add_f32 v[58:59], v[60:61], v[58:59]
	v_pk_add_f32 v[108:109], v[114:115], v[108:109]
	s_mov_b32 s68, s21
	s_mov_b32 s69, s3
	v_pk_mul_f32 v[114:115], v[66:67], s[70:71] op_sel_hi:[0,1]
	ds_write2_b32 v124, v58, v59 offset0:8 offset1:9
	v_pk_fma_f32 v[58:59], v[46:47], s[64:65], v[80:81] op_sel:[1,0,0]
	v_pk_fma_f32 v[116:117], v[52:53], s[68:69], v[114:115] op_sel:[1,0,0] neg_lo:[1,0,0] neg_hi:[1,0,0]
	s_mov_b32 s70, s8
	s_mov_b32 s71, s18
	v_pk_add_f32 v[58:59], v[30:31], v[58:59] op_sel:[1,0]
	v_pk_fma_f32 v[60:61], v[10:11], s[60:61], v[110:111] op_sel:[1,0,0]
	v_pk_add_f32 v[108:109], v[116:117], v[108:109]
	s_mov_b32 s72, s9
	s_mov_b32 s73, s36
	v_pk_mul_f32 v[116:117], v[68:69], s[70:71] op_sel_hi:[0,1]
	v_pk_add_f32 v[58:59], v[58:59], v[60:61]
	v_pk_fma_f32 v[60:61], v[48:49], s[66:67], v[112:113] op_sel:[1,0,0]
	v_pk_fma_f32 v[118:119], v[54:55], s[72:73], v[116:117] op_sel:[1,0,0] neg_lo:[1,0,0] neg_hi:[1,0,0]
	s_mov_b32 s70, s14
	s_mov_b32 s71, s26
	v_pk_add_f32 v[58:59], v[60:61], v[58:59]
	v_pk_fma_f32 v[60:61], v[50:51], s[62:63], v[104:105] op_sel:[1,0,0]
	v_pk_add_f32 v[108:109], v[118:119], v[108:109]
	s_mov_b32 s26, s31
	s_mov_b32 s27, s24
	v_pk_mul_f32 v[118:119], v[8:9], s[70:71] op_sel_hi:[0,1]
	v_pk_add_f32 v[58:59], v[60:61], v[58:59]
	v_pk_fma_f32 v[60:61], v[52:53], s[68:69], v[114:115] op_sel:[1,0,0]
	v_pk_fma_f32 v[120:121], v[12:13], s[26:27], v[118:119] op_sel:[1,0,0] neg_lo:[1,0,0] neg_hi:[1,0,0]
	s_mov_b32 s70, s12
	s_mov_b32 s71, s14
	v_pk_add_f32 v[58:59], v[60:61], v[58:59]
	v_pk_fma_f32 v[60:61], v[54:55], s[72:73], v[116:117] op_sel:[1,0,0]
	v_pk_add_f32 v[108:109], v[120:121], v[108:109]
	s_mov_b32 s74, s45
	s_mov_b32 s75, s15
	v_pk_mul_f32 v[120:121], v[70:71], s[70:71] op_sel_hi:[0,1]
	v_pk_add_f32 v[58:59], v[60:61], v[58:59]
	v_pk_fma_f32 v[60:61], v[12:13], s[26:27], v[118:119] op_sel:[1,0,0]
	v_pk_fma_f32 v[46:47], v[46:47], s[38:39], v[78:79] op_sel:[1,0,0]
	v_pk_add_f32 v[58:59], v[60:61], v[58:59]
	v_pk_fma_f32 v[60:61], v[56:57], s[74:75], v[120:121] op_sel_hi:[0,1,1]
	v_pk_add_f32 v[58:59], v[60:61], v[58:59]
	ds_write2_b32 v124, v59, v58 offset0:12 offset1:13
	v_pk_add_f32 v[46:47], v[30:31], v[46:47] op_sel:[1,0]
	v_pk_fma_f32 v[58:59], v[10:11], s[40:41], v[82:83] op_sel:[1,0,0]
	v_pk_fma_f32 v[48:49], v[48:49], s[46:47], v[84:85] op_sel:[1,0,0]
	v_pk_add_f32 v[46:47], v[46:47], v[58:59]
	v_pk_fma_f32 v[122:123], v[56:57], s[74:75], v[120:121] op_sel_hi:[0,1,1] neg_lo:[1,0,0] neg_hi:[1,0,0]
	v_pk_add_f32 v[46:47], v[48:49], v[46:47]
	v_pk_fma_f32 v[48:49], v[50:51], s[48:49], v[86:87] op_sel:[1,0,0]
	v_pk_add_f32 v[108:109], v[122:123], v[108:109]
	v_pk_add_f32 v[46:47], v[48:49], v[46:47]
	v_pk_fma_f32 v[48:49], v[52:53], s[52:53], v[98:99] op_sel:[1,0,0]
	ds_write2_b32 v124, v108, v109 offset0:4 offset1:5
	v_pk_add_f32 v[46:47], v[48:49], v[46:47]
	v_pk_fma_f32 v[48:49], v[54:55], s[54:55], v[100:101] op_sel:[1,0,0]
	s_nop 0
	v_pk_add_f32 v[46:47], v[48:49], v[46:47]
	v_pk_fma_f32 v[48:49], v[12:13], s[56:57], v[102:103] op_sel:[1,0,0]
	s_nop 0
	v_pk_add_f32 v[46:47], v[48:49], v[46:47]
	v_pk_fma_f32 v[48:49], v[56:57], s[58:59], v[106:107] op_sel_hi:[0,1,1]
	v_pk_add_f32 v[46:47], v[48:49], v[46:47]
	ds_write2_b32 v124, v47, v46 offset0:14 offset1:15
	ds_write_b32 v124, v1 offset:64
	v_mov_b32_e32 v16, v47
	v_mov_b32_e32 v31, v46
.LBB0_13:
	s_or_b64 exec, exec, s[22:23]
	v_pk_add_f32 v[46:47], v[6:7], v[32:33]
	v_mov_b32_e32 v48, v25
	v_pk_add_f32 v[46:47], v[46:47], v[34:35]
	v_mov_b32_e32 v49, v27
	;; [unrolled: 2-line block ×5, first 2 shown]
	v_mov_b32_e32 v47, v43
	v_mov_b32_e32 v45, v42
	;; [unrolled: 1-line block ×4, first 2 shown]
	v_pk_add_f32 v[46:47], v[46:47], v[48:49]
	v_pk_add_f32 v[44:45], v[44:45], v[42:43] neg_lo:[0,1] neg_hi:[0,1]
	v_mov_b32_e32 v42, v47
	v_mov_b32_e32 v43, v45
	v_pk_mul_f32 v[66:67], v[42:43], s[20:21]
	v_mov_b32_e32 v42, v46
	v_mov_b32_e32 v43, v44
	v_pk_mul_f32 v[64:65], v[42:43], s[18:19]
	v_mov_b32_e32 v42, v39
	v_mov_b32_e32 v43, v41
	;; [unrolled: 1-line block ×4, first 2 shown]
	v_pk_add_f32 v[42:43], v[42:43], v[48:49]
	v_mov_b32_e32 v48, v38
	v_mov_b32_e32 v49, v40
	v_mov_b32_e32 v40, v22
	v_mov_b32_e32 v41, v28
	v_pk_add_f32 v[48:49], v[48:49], v[40:41] neg_lo:[0,1] neg_hi:[0,1]
	v_mov_b32_e32 v40, v43
	v_mov_b32_e32 v41, v49
	v_pk_mul_f32 v[74:75], v[40:41], s[16:17]
	v_mov_b32_e32 v40, v42
	v_mov_b32_e32 v41, v48
	v_pk_mul_f32 v[68:69], v[40:41], s[14:15]
	v_mov_b32_e32 v40, v51
	v_mov_b32_e32 v41, v15
	;; [unrolled: 1-line block ×5, first 2 shown]
	v_pk_add_f32 v[40:41], v[40:41], v[38:39]
	v_mov_b32_e32 v72, v37
	v_pk_add_f32 v[50:51], v[32:33], v[16:17]
	v_pk_mul_f32 v[76:77], v[40:41], v[72:73]
	v_pk_add_f32 v[56:57], v[32:33], v[16:17] neg_lo:[0,1] neg_hi:[0,1]
	v_mov_b32_e32 v32, v51
	v_mov_b32_e32 v33, v10
	v_pk_mul_f32 v[70:71], v[32:33], s[12:13]
	v_fmamk_f32 v16, v56, 0x3eb8f4ab, v77
	v_sub_f32_e32 v14, v70, v71
	v_add_f32_e32 v16, v7, v16
	v_sub_f32_e32 v18, v66, v67
	v_add_f32_e32 v14, v16, v14
	;; [unrolled: 2-line block ×4, first 2 shown]
	v_mov_b32_e32 v58, v9
	v_mov_b32_e32 v59, v12
	v_sub_f32_e32 v26, v68, v69
	v_add_f32_e32 v14, v22, v14
	v_pk_mul_f32 v[62:63], v[58:59], s[8:9]
	v_mov_b32_e32 v31, v6
	v_add_f32_e32 v14, v26, v14
	v_sub_f32_e32 v16, v62, v63
	v_pk_add_f32 v[52:53], v[20:21], v[30:31]
	v_pk_add_f32 v[54:55], v[20:21], v[30:31] neg_lo:[0,1] neg_hi:[0,1]
	v_lshl_add_u32 v76, v0, 2, 0
	v_add_u32_e32 v85, 0xcc, v0
	v_add_f32_e32 v18, v16, v14
	v_mov_b32_e32 v30, v53
	v_mov_b32_e32 v31, v54
	v_add_u32_e32 v89, 0xc00, v76
	v_add_u32_e32 v84, 0x132, v0
	v_lshl_add_u32 v78, v85, 2, 0
	v_add_u32_e32 v14, 0xe00, v76
	v_add_u32_e32 v82, 0x1fe, v0
	;; [unrolled: 1-line block ×7, first 2 shown]
	v_pk_mul_f32 v[60:61], v[30:31], s[2:3]
	s_waitcnt lgkmcnt(0)
	s_barrier
	ds_read2_b32 v[30:31], v76 offset1:102
	ds_read2_b32 v[32:33], v89 offset0:48 offset1:150
	ds_read2_b32 v[34:35], v14 offset0:124 offset1:226
	v_lshl_add_u32 v87, v84, 2, 0
	v_lshl_add_u32 v79, v83, 2, 0
	ds_read2_b32 v[36:37], v16 offset0:72 offset1:174
	v_lshl_add_u32 v86, v82, 2, 0
	v_lshl_add_u32 v80, v92, 2, 0
	ds_read2_b32 v[38:39], v88 offset0:148 offset1:250
	v_lshl_add_u32 v90, v91, 2, 0
	ds_read_b32 v93, v78
	ds_read_b32 v28, v87
	;; [unrolled: 1-line block ×6, first 2 shown]
	v_sub_f32_e32 v81, v60, v61
	s_mov_b32 s13, 0x3eb8f4ab
	v_add_f32_e32 v81, v81, v18
	s_waitcnt lgkmcnt(0)
	s_barrier
	s_and_saveexec_b64 s[2:3], s[0:1]
	s_cbranch_execz .LBB0_15
; %bb.14:
	v_mov_b32_e32 v97, v66
	v_pk_add_f32 v[66:67], v[96:97], v[66:67]
	v_pk_add_f32 v[72:73], v[40:41], v[72:73]
	v_mul_f32_e32 v95, 0xbeb8f4ab, v56
	v_mov_b32_e32 v73, v77
	v_mov_b32_e32 v66, v23
	;; [unrolled: 1-line block ×4, first 2 shown]
	v_pk_add_f32 v[70:71], v[22:23], v[70:71]
	v_pk_add_f32 v[72:73], v[72:73], v[94:95]
	v_mov_b32_e32 v99, v64
	v_pk_add_f32 v[72:73], v[72:73], v[6:7]
	v_mov_b32_e32 v70, v19
	;; [unrolled: 2-line block ×3, first 2 shown]
	v_pk_add_f32 v[18:19], v[72:73], v[70:71]
	v_pk_add_f32 v[74:75], v[100:101], v[74:75]
	v_mov_b32_e32 v103, v68
	v_mov_b32_e32 v64, v29
	v_pk_add_f32 v[18:19], v[18:19], v[66:67]
	v_pk_add_f32 v[68:69], v[102:103], v[68:69]
	v_mov_b32_e32 v74, v25
	v_mov_b32_e32 v104, v56
	;; [unrolled: 1-line block ×3, first 2 shown]
	s_mov_b32 s19, 0x3f6eb680
	s_mov_b32 s18, 0xbe3c28d5
	v_mov_b32_e32 v108, v41
	v_mov_b32_e32 v109, v10
	s_mov_b32 s12, 0xbf7ba420
	v_pk_add_f32 v[18:19], v[18:19], v[64:65]
	s_mov_b32 s8, 0x3f2c7751
	v_mov_b32_e32 v68, v27
	v_pk_mul_f32 v[106:107], v[104:105], s[18:19]
	v_pk_mul_f32 v[108:109], v[108:109], s[12:13]
	v_pk_add_f32 v[18:19], v[18:19], v[74:75]
	s_mov_b32 s14, 0x3f3d2fb0
	s_mov_b32 s9, 0xbf06c442
	v_pk_add_f32 v[64:65], v[18:19], v[68:69]
	v_pk_fma_f32 v[18:19], v[104:105], s[18:19], v[108:109]
	v_mov_b32_e32 v66, v7
	v_mov_b32_e32 v70, v108
	;; [unrolled: 1-line block ×4, first 2 shown]
	s_mov_b32 s15, 0xbf59a7d5
	v_pk_mul_f32 v[96:97], v[44:45], s[8:9]
	v_pk_add_f32 v[68:69], v[66:67], v[18:19]
	v_pk_add_f32 v[70:71], v[70:71], v[106:107] neg_lo:[0,1] neg_hi:[0,1]
	v_mov_b32_e32 v18, v19
	v_pk_fma_f32 v[98:99], v[46:47], s[14:15], v[96:97]
	s_mov_b32 s17, 0xbf4c4adb
	s_mov_b32 s16, 0x3f65296c
	v_pk_add_f32 v[66:67], v[66:67], v[70:71]
	v_pk_add_f32 v[18:19], v[68:69], v[18:19]
	v_mov_b32_e32 v68, v71
	v_pk_fma_f32 v[96:97], v[46:47], s[14:15], v[96:97] neg_lo:[0,0,1] neg_hi:[0,0,1]
	s_mov_b32 s1, 0xbf1a4643
	s_mov_b32 s0, 0x3ee437d1
	v_pk_mul_f32 v[100:101], v[48:49], s[16:17]
	v_pk_add_f32 v[66:67], v[66:67], v[68:69]
	v_mov_b32_e32 v68, v99
	v_mov_b32_e32 v21, v62
	v_pk_fma_f32 v[102:103], v[42:43], s[0:1], v[100:101]
	v_pk_add_f32 v[18:19], v[68:69], v[18:19]
	v_mov_b32_e32 v68, v97
	v_pk_add_f32 v[62:63], v[20:21], v[62:63]
	s_mov_b32 s20, 0xbe8c1d8e
	v_pk_fma_f32 v[100:101], v[42:43], s[0:1], v[100:101] neg_lo:[0,0,1] neg_hi:[0,0,1]
	v_pk_add_f32 v[66:67], v[68:69], v[66:67]
	v_pk_add_f32 v[18:19], v[98:99], v[18:19]
	v_mov_b32_e32 v68, v103
	v_mov_b32_e32 v62, v17
	s_mov_b32 s21, 0xbf763a35
	v_pk_add_f32 v[66:67], v[96:97], v[66:67]
	v_pk_add_f32 v[18:19], v[68:69], v[18:19]
	v_mov_b32_e32 v68, v101
	v_pk_add_f32 v[62:63], v[64:65], v[62:63]
	v_pk_mul_f32 v[64:65], v[58:59], s[20:21]
	v_pk_add_f32 v[66:67], v[68:69], v[66:67]
	v_mov_b32_e32 v68, v65
	v_mov_b32_e32 v17, v64
	v_pk_fma_f32 v[68:69], v[58:59], s[20:21], v[68:69]
	v_pk_fma_f32 v[58:59], v[58:59], s[20:21], v[16:17] neg_lo:[1,0,0] neg_hi:[1,0,0]
	v_mov_b32_e32 v17, v60
	v_pk_add_f32 v[60:61], v[16:17], v[60:61]
	s_mov_b32 s25, 0xbf65296c
	v_mov_b32_e32 v60, v15
	s_mov_b32 s24, 0xbf2c7751
	v_pk_add_f32 v[60:61], v[60:61], v[62:63]
	v_pk_mul_f32 v[62:63], v[56:57], s[24:25] op_sel_hi:[0,1]
	s_mov_b32 s26, 0xbf7ee86f
	s_mov_b32 s27, s17
	;; [unrolled: 1-line block ×6, first 2 shown]
	v_pk_mul_f32 v[64:65], v[10:11], s[26:27] op_sel_hi:[0,1]
	s_mov_b32 s29, 0x3e3c28d5
	s_mov_b32 s28, s17
	v_pk_fma_f32 v[106:107], v[40:41], s[44:45], v[62:63] op_sel:[1,0,0]
	v_pk_fma_f32 v[70:71], v[50:51], s[22:23], v[64:65] op_sel:[1,0,0]
	s_mov_b32 s34, s1
	s_mov_b32 s35, s12
	v_pk_mul_f32 v[72:73], v[44:45], s[28:29] op_sel:[1,0]
	s_mov_b32 s31, 0x3f763a35
	s_mov_b32 s30, s18
	v_pk_add_f32 v[106:107], v[6:7], v[106:107] op_sel:[1,0]
	v_pk_fma_f32 v[74:75], v[46:47], s[34:35], v[72:73] op_sel:[1,0,0]
	s_mov_b32 s36, s12
	s_mov_b32 s37, s20
	v_pk_mul_f32 v[94:95], v[44:45], s[30:31] op_sel_hi:[0,1]
	s_mov_b32 s40, 0x3f06c442
	s_mov_b32 s41, s8
	v_pk_add_f32 v[70:71], v[106:107], v[70:71]
	v_pk_fma_f32 v[96:97], v[46:47], s[36:37], v[94:95] op_sel_hi:[0,1,1]
	s_mov_b32 s38, s15
	s_mov_b32 s39, s14
	v_pk_mul_f32 v[98:99], v[48:49], s[40:41] op_sel:[1,0]
	s_mov_b32 s29, 0xbeb8f4ab
	s_mov_b32 s28, s31
	v_pk_add_f32 v[70:71], v[74:75], v[70:71]
	v_pk_add_f32 v[18:19], v[102:103], v[18:19]
	;; [unrolled: 1-line block ×3, first 2 shown]
	v_pk_fma_f32 v[100:101], v[42:43], s[38:39], v[98:99] op_sel:[1,0,0]
	s_mov_b32 s42, s20
	s_mov_b32 s43, s19
	v_pk_mul_f32 v[102:103], v[48:49], s[28:29] op_sel_hi:[0,1]
	v_pk_add_f32 v[70:71], v[96:97], v[70:71]
	s_mov_b32 s48, s16
	s_mov_b32 s49, s26
	v_pk_fma_f32 v[62:63], v[40:41], s[44:45], v[62:63] op_sel:[1,0,0] neg_lo:[0,0,1] neg_hi:[0,0,1]
	v_pk_fma_f32 v[104:105], v[42:43], s[42:43], v[102:103] op_sel_hi:[0,1,1]
	v_pk_add_f32 v[70:71], v[100:101], v[70:71]
	s_mov_b32 s46, s0
	s_mov_b32 s47, s22
	v_pk_mul_f32 v[74:75], v[12:13], s[48:49] op_sel_hi:[0,1]
	v_pk_fma_f32 v[64:65], v[50:51], s[22:23], v[64:65] op_sel:[1,0,0] neg_lo:[0,0,1] neg_hi:[0,0,1]
	v_pk_add_f32 v[62:63], v[6:7], v[62:63] op_sel:[1,0]
	v_pk_add_f32 v[70:71], v[104:105], v[70:71]
	v_pk_fma_f32 v[96:97], v[8:9], s[46:47], v[74:75] op_sel:[1,0,0]
	s_mov_b32 s50, s13
	s_mov_b32 s51, s9
	v_pk_fma_f32 v[72:73], v[46:47], s[34:35], v[72:73] op_sel:[1,0,0] neg_lo:[0,0,1] neg_hi:[0,0,1]
	v_pk_add_f32 v[62:63], v[62:63], v[64:65]
	v_pk_add_f32 v[70:71], v[96:97], v[70:71]
	s_mov_b32 s48, s19
	s_mov_b32 s49, s15
	v_pk_mul_f32 v[96:97], v[54:55], s[50:51] op_sel_hi:[0,1]
	v_pk_fma_f32 v[94:95], v[46:47], s[36:37], v[94:95] op_sel_hi:[0,1,1] neg_lo:[0,0,1] neg_hi:[0,0,1]
	v_pk_add_f32 v[62:63], v[72:73], v[62:63]
	v_pk_fma_f32 v[100:101], v[52:53], s[48:49], v[96:97] op_sel:[1,0,0]
	v_pk_fma_f32 v[98:99], v[42:43], s[38:39], v[98:99] op_sel:[1,0,0] neg_lo:[0,0,1] neg_hi:[0,0,1]
	v_pk_add_f32 v[62:63], v[94:95], v[62:63]
	v_pk_add_f32 v[70:71], v[100:101], v[70:71]
	v_pk_fma_f32 v[100:101], v[42:43], s[42:43], v[102:103] op_sel_hi:[0,1,1] neg_lo:[0,0,1] neg_hi:[0,0,1]
	v_pk_add_f32 v[62:63], v[98:99], v[62:63]
	v_pk_fma_f32 v[64:65], v[8:9], s[46:47], v[74:75] op_sel:[1,0,0] neg_lo:[0,0,1] neg_hi:[0,0,1]
	v_pk_add_f32 v[62:63], v[100:101], v[62:63]
	s_mov_b32 s27, s21
	v_pk_add_f32 v[62:63], v[64:65], v[62:63]
	v_pk_fma_f32 v[64:65], v[52:53], s[48:49], v[96:97] op_sel:[1,0,0] neg_lo:[0,0,1] neg_hi:[0,0,1]
	s_mov_b32 s36, s18
	v_pk_add_f32 v[62:63], v[64:65], v[62:63]
	v_pk_mul_f32 v[64:65], v[56:57], s[26:27] op_sel_hi:[0,1]
	s_mov_b32 s37, s40
	s_mov_b32 s23, s20
	;; [unrolled: 1-line block ×4, first 2 shown]
	v_pk_mul_f32 v[72:73], v[10:11], s[36:37] op_sel_hi:[0,1]
	s_mov_b32 s38, s31
	s_mov_b32 s39, s8
	v_pk_fma_f32 v[110:111], v[40:41], s[22:23], v[64:65] op_sel:[1,0,0]
	v_pk_fma_f32 v[74:75], v[50:51], s[34:35], v[72:73] op_sel:[1,0,0]
	s_mov_b32 s36, s20
	s_mov_b32 s37, s14
	v_pk_mul_f32 v[94:95], v[44:45], s[38:39] op_sel:[1,0]
	s_mov_b32 s40, s13
	s_mov_b32 s41, s25
	v_pk_add_f32 v[110:111], v[6:7], v[110:111] op_sel:[1,0]
	v_pk_fma_f32 v[96:97], v[46:47], s[36:37], v[94:95] op_sel:[1,0,0]
	s_mov_b32 s38, s19
	s_mov_b32 s39, s0
	v_pk_mul_f32 v[98:99], v[44:45], s[40:41] op_sel_hi:[0,1]
	s_mov_b32 s42, s25
	s_mov_b32 s43, s18
	v_pk_add_f32 v[74:75], v[110:111], v[74:75]
	v_pk_fma_f32 v[100:101], v[46:47], s[38:39], v[98:99] op_sel_hi:[0,1,1]
	s_mov_b32 s40, s0
	s_mov_b32 s41, s12
	v_pk_mul_f32 v[102:103], v[48:49], s[42:43] op_sel:[1,0]
	s_mov_b32 s45, 0x3f7ee86f
	s_mov_b32 s44, s9
	v_pk_add_f32 v[74:75], v[96:97], v[74:75]
	v_pk_fma_f32 v[104:105], v[42:43], s[40:41], v[102:103] op_sel:[1,0,0]
	s_mov_b32 s42, s15
	s_mov_b32 s43, s22
	v_pk_mul_f32 v[106:107], v[48:49], s[44:45] op_sel_hi:[0,1]
	v_pk_add_f32 v[74:75], v[100:101], v[74:75]
	s_mov_b32 s28, 0x3f4c4adb
	v_pk_fma_f32 v[64:65], v[40:41], s[22:23], v[64:65] op_sel:[1,0,0] neg_lo:[0,0,1] neg_hi:[0,0,1]
	v_pk_fma_f32 v[108:109], v[42:43], s[42:43], v[106:107] op_sel_hi:[0,1,1]
	v_pk_add_f32 v[74:75], v[104:105], v[74:75]
	s_mov_b32 s46, s1
	s_mov_b32 s47, s19
	v_pk_mul_f32 v[96:97], v[12:13], s[28:29] op_sel_hi:[0,1]
	v_pk_fma_f32 v[72:73], v[50:51], s[34:35], v[72:73] op_sel:[1,0,0] neg_lo:[0,0,1] neg_hi:[0,0,1]
	v_pk_add_f32 v[64:65], v[6:7], v[64:65] op_sel:[1,0]
	v_pk_add_f32 v[74:75], v[108:109], v[74:75]
	v_pk_fma_f32 v[100:101], v[8:9], s[46:47], v[96:97] op_sel:[1,0,0]
	s_mov_b32 s50, s8
	s_mov_b32 s51, s17
	v_pk_fma_f32 v[94:95], v[46:47], s[36:37], v[94:95] op_sel:[1,0,0] neg_lo:[0,0,1] neg_hi:[0,0,1]
	v_pk_add_f32 v[64:65], v[64:65], v[72:73]
	v_pk_add_f32 v[74:75], v[100:101], v[74:75]
	s_mov_b32 s48, s14
	s_mov_b32 s49, s1
	v_pk_mul_f32 v[100:101], v[54:55], s[50:51] op_sel_hi:[0,1]
	v_pk_fma_f32 v[98:99], v[46:47], s[38:39], v[98:99] op_sel_hi:[0,1,1] neg_lo:[0,0,1] neg_hi:[0,0,1]
	v_pk_add_f32 v[64:65], v[94:95], v[64:65]
	v_pk_fma_f32 v[104:105], v[52:53], s[48:49], v[100:101] op_sel:[1,0,0]
	v_pk_fma_f32 v[102:103], v[42:43], s[40:41], v[102:103] op_sel:[1,0,0] neg_lo:[0,0,1] neg_hi:[0,0,1]
	v_pk_add_f32 v[64:65], v[98:99], v[64:65]
	v_pk_add_f32 v[74:75], v[104:105], v[74:75]
	v_pk_fma_f32 v[104:105], v[42:43], s[42:43], v[106:107] op_sel_hi:[0,1,1] neg_lo:[0,0,1] neg_hi:[0,0,1]
	v_pk_add_f32 v[64:65], v[102:103], v[64:65]
	s_mov_b32 s36, s29
	s_mov_b32 s37, s26
	v_pk_add_f32 v[64:65], v[104:105], v[64:65]
	v_pk_fma_f32 v[72:73], v[8:9], s[46:47], v[96:97] op_sel:[1,0,0] neg_lo:[0,0,1] neg_hi:[0,0,1]
	s_mov_b32 s34, s17
	s_mov_b32 s35, s9
	v_pk_mul_f32 v[94:95], v[44:45], s[36:37] op_sel:[1,0]
	s_mov_b32 s37, s28
	s_mov_b32 s28, s45
	;; [unrolled: 1-line block ×3, first 2 shown]
	v_pk_add_f32 v[64:65], v[72:73], v[64:65]
	v_pk_fma_f32 v[72:73], v[52:53], s[48:49], v[100:101] op_sel:[1,0,0] neg_lo:[0,0,1] neg_hi:[0,0,1]
	v_pk_mul_f32 v[56:57], v[56:57], s[34:35] op_sel_hi:[0,1]
	s_mov_b32 s30, s31
	s_mov_b32 s31, s16
	v_pk_mul_f32 v[100:101], v[48:49], s[28:29] op_sel:[1,0]
	v_pk_mul_f32 v[48:49], v[48:49], s[24:25] op_sel_hi:[0,1]
	s_mov_b32 s24, s1
	s_mov_b32 s25, s15
	;; [unrolled: 1-line block ×4, first 2 shown]
	v_pk_mul_f32 v[10:11], v[10:11], s[30:31] op_sel_hi:[0,1]
	v_pk_fma_f32 v[106:107], v[40:41], s[24:25], v[56:57] op_sel:[1,0,0]
	v_pk_add_f32 v[64:65], v[72:73], v[64:65]
	v_pk_fma_f32 v[72:73], v[50:51], s[34:35], v[10:11] op_sel:[1,0,0]
	s_mov_b32 s30, s19
	s_mov_b32 s31, s22
	;; [unrolled: 1-line block ×3, first 2 shown]
	v_pk_add_f32 v[106:107], v[6:7], v[106:107] op_sel:[1,0]
	v_pk_fma_f32 v[40:41], v[40:41], s[24:25], v[56:57] op_sel:[1,0,0] neg_lo:[0,0,1] neg_hi:[0,0,1]
	v_pk_fma_f32 v[96:97], v[46:47], s[30:31], v[94:95] op_sel:[1,0,0]
	s_mov_b32 s26, s15
	s_mov_b32 s27, s1
	v_pk_mul_f32 v[44:45], v[44:45], s[36:37] op_sel_hi:[0,1]
	v_pk_add_f32 v[72:73], v[106:107], v[72:73]
	v_pk_fma_f32 v[10:11], v[50:51], s[34:35], v[10:11] op_sel:[1,0,0] neg_lo:[0,0,1] neg_hi:[0,0,1]
	v_pk_add_f32 v[6:7], v[6:7], v[40:41] op_sel:[1,0]
	v_pk_fma_f32 v[98:99], v[46:47], s[26:27], v[44:45] op_sel_hi:[0,1,1]
	s_mov_b32 s23, s19
	v_pk_add_f32 v[72:73], v[96:97], v[72:73]
	v_pk_fma_f32 v[50:51], v[46:47], s[30:31], v[94:95] op_sel:[1,0,0] neg_lo:[0,0,1] neg_hi:[0,0,1]
	v_pk_add_f32 v[6:7], v[6:7], v[10:11]
	v_pk_fma_f32 v[102:103], v[42:43], s[22:23], v[100:101] op_sel:[1,0,0]
	s_mov_b32 s28, s14
	s_mov_b32 s29, s12
	v_pk_add_f32 v[72:73], v[98:99], v[72:73]
	s_mov_b32 s19, s8
	v_pk_fma_f32 v[44:45], v[46:47], s[26:27], v[44:45] op_sel_hi:[0,1,1] neg_lo:[0,0,1] neg_hi:[0,0,1]
	v_pk_add_f32 v[6:7], v[50:51], v[6:7]
	v_pk_fma_f32 v[104:105], v[42:43], s[28:29], v[48:49] op_sel_hi:[0,1,1]
	v_pk_add_f32 v[72:73], v[102:103], v[72:73]
	s_mov_b32 s13, s14
	v_pk_mul_f32 v[12:13], v[12:13], s[18:19] op_sel_hi:[0,1]
	v_pk_fma_f32 v[46:47], v[42:43], s[22:23], v[100:101] op_sel:[1,0,0] neg_lo:[0,0,1] neg_hi:[0,0,1]
	v_pk_add_f32 v[6:7], v[44:45], v[6:7]
	v_pk_add_f32 v[72:73], v[104:105], v[72:73]
	v_pk_fma_f32 v[96:97], v[8:9], s[12:13], v[12:13] op_sel:[1,0,0]
	s_mov_b32 s17, s21
	v_pk_fma_f32 v[42:43], v[42:43], s[28:29], v[48:49] op_sel_hi:[0,1,1] neg_lo:[0,0,1] neg_hi:[0,0,1]
	v_pk_add_f32 v[6:7], v[46:47], v[6:7]
	v_pk_add_f32 v[72:73], v[96:97], v[72:73]
	s_mov_b32 s1, s20
	v_pk_mul_f32 v[96:97], v[54:55], s[16:17] op_sel_hi:[0,1]
	v_pk_add_f32 v[6:7], v[42:43], v[6:7]
	v_pk_fma_f32 v[8:9], v[8:9], s[12:13], v[12:13] op_sel:[1,0,0] neg_lo:[0,0,1] neg_hi:[0,0,1]
	v_mul_f32_e32 v58, 0x3f7ee86f, v54
	v_pk_add_f32 v[6:7], v[8:9], v[6:7]
	v_pk_fma_f32 v[8:9], v[52:53], s[0:1], v[96:97] op_sel:[1,0,0] neg_lo:[0,0,1] neg_hi:[0,0,1]
	v_mov_b32_e32 v12, v18
	v_pk_add_f32 v[6:7], v[8:9], v[6:7]
	v_mul_f32_e32 v8, 0x3dbcf732, v53
	v_mov_b32_e32 v9, v66
	v_pk_add_f32 v[10:11], v[8:9], v[58:59]
	v_mov_b32_e32 v13, v8
	v_mov_b32_e32 v8, v68
	;; [unrolled: 1-line block ×3, first 2 shown]
	v_pk_add_f32 v[18:19], v[18:19], v[68:69]
	v_pk_add_f32 v[8:9], v[12:13], v[8:9] neg_lo:[0,1] neg_hi:[0,1]
	v_pk_fma_f32 v[98:99], v[52:53], s[0:1], v[96:97] op_sel:[1,0,0]
	v_mov_b32_e32 v19, v9
	v_pk_add_f32 v[8:9], v[10:11], v[18:19]
	v_lshl_add_u32 v10, v0, 6, v76
	v_pk_add_f32 v[72:73], v[98:99], v[72:73]
	ds_write2_b32 v10, v60, v61 offset1:1
	ds_write2_b32 v10, v70, v71 offset0:2 offset1:3
	ds_write2_b32 v10, v74, v75 offset0:4 offset1:5
	;; [unrolled: 1-line block ×7, first 2 shown]
	ds_write_b32 v10, v81 offset:64
.LBB0_15:
	s_or_b64 exec, exec, s[2:3]
	s_movk_i32 s0, 0xf1
	v_add_u32_e32 v52, 0x66, v0
	v_mul_lo_u16_sdwa v15, v0, s0 dst_sel:DWORD dst_unused:UNUSED_PAD src0_sel:BYTE_0 src1_sel:DWORD
	v_lshrrev_b16_e32 v17, 12, v15
	v_mul_lo_u16_sdwa v29, v52, s0 dst_sel:DWORD dst_unused:UNUSED_PAD src0_sel:BYTE_0 src1_sel:DWORD
	s_mov_b32 s0, 0xf0f1
	v_mul_lo_u16_e32 v6, 17, v17
	v_lshrrev_b16_e32 v23, 12, v29
	v_mul_u32_u24_sdwa v53, v85, s0 dst_sel:DWORD dst_unused:UNUSED_PAD src0_sel:WORD_0 src1_sel:DWORD
	v_sub_u16_e32 v21, v0, v6
	v_mul_lo_u16_e32 v6, 17, v23
	v_lshrrev_b32_e32 v58, 20, v53
	v_mul_u32_u24_sdwa v60, v84, s0 dst_sel:DWORD dst_unused:UNUSED_PAD src0_sel:WORD_0 src1_sel:DWORD
	v_sub_u16_e32 v25, v52, v6
	v_mul_lo_u16_e32 v6, 17, v58
	v_lshrrev_b32_e32 v61, 20, v60
	v_mov_b32_e32 v27, 3
	v_sub_u16_e32 v59, v85, v6
	v_mul_lo_u16_e32 v6, 17, v61
	v_mul_u32_u24_sdwa v63, v83, s0 dst_sel:DWORD dst_unused:UNUSED_PAD src0_sel:WORD_0 src1_sel:DWORD
	v_lshlrev_b32_sdwa v18, v27, v21 dst_sel:DWORD dst_unused:UNUSED_PAD src0_sel:DWORD src1_sel:BYTE_0
	v_sub_u16_e32 v62, v84, v6
	v_lshrrev_b32_e32 v64, 20, v63
	s_load_dwordx2 s[6:7], s[6:7], 0x0
	s_waitcnt lgkmcnt(0)
	s_barrier
	v_lshlrev_b32_sdwa v19, v27, v25 dst_sel:DWORD dst_unused:UNUSED_PAD src0_sel:DWORD src1_sel:BYTE_0
	v_lshlrev_b32_e32 v40, 3, v59
	v_lshlrev_b32_e32 v41, 3, v62
	global_load_dwordx2 v[6:7], v18, s[4:5]
	global_load_dwordx2 v[8:9], v19, s[4:5]
	;; [unrolled: 1-line block ×4, first 2 shown]
	v_mul_lo_u16_e32 v18, 17, v64
	v_mul_u32_u24_sdwa v66, v82, s0 dst_sel:DWORD dst_unused:UNUSED_PAD src0_sel:WORD_0 src1_sel:DWORD
	v_mul_u32_u24_sdwa v69, v92, s0 dst_sel:DWORD dst_unused:UNUSED_PAD src0_sel:WORD_0 src1_sel:DWORD
	v_sub_u16_e32 v65, v83, v18
	v_lshrrev_b32_e32 v67, 20, v66
	v_lshrrev_b32_e32 v70, 20, v69
	v_lshlrev_b32_e32 v18, 3, v65
	v_mul_lo_u16_e32 v19, 17, v67
	v_mul_lo_u16_e32 v42, 17, v70
	v_sub_u16_e32 v68, v82, v19
	global_load_dwordx2 v[18:19], v18, s[4:5]
	v_sub_u16_e32 v71, v92, v42
	v_lshlrev_b32_e32 v40, 3, v68
	global_load_dwordx2 v[40:41], v40, s[4:5]
	v_lshlrev_b32_e32 v42, 3, v71
	global_load_dwordx2 v[42:43], v42, s[4:5]
	v_mul_u32_u24_sdwa v72, v91, s0 dst_sel:DWORD dst_unused:UNUSED_PAD src0_sel:WORD_0 src1_sel:DWORD
	v_lshrrev_b32_e32 v73, 20, v72
	v_mul_lo_u16_e32 v44, 17, v73
	v_sub_u16_e32 v74, v91, v44
	v_lshlrev_b32_e32 v44, 3, v74
	global_load_dwordx2 v[44:45], v44, s[4:5]
	ds_read2_b32 v[46:47], v76 offset1:102
	ds_read2_b32 v[48:49], v89 offset0:48 offset1:150
	ds_read2_b32 v[50:51], v14 offset0:124 offset1:226
	;; [unrolled: 1-line block ×4, first 2 shown]
	ds_read_b32 v75, v78
	ds_read_b32 v77, v87
	;; [unrolled: 1-line block ×6, first 2 shown]
	v_mul_u32_u24_e32 v17, 0x88, v17
	s_waitcnt lgkmcnt(0)
	s_barrier
	s_mov_b32 s0, 0x5040100
	s_movk_i32 s1, 0x88
	v_lshrrev_b32_e32 v72, 21, v72
	s_waitcnt vmcnt(7)
	v_mul_f32_e32 v98, v48, v7
	v_mul_f32_e32 v7, v32, v7
	s_waitcnt vmcnt(6)
	v_mul_f32_e32 v99, v49, v9
	v_mul_f32_e32 v9, v33, v9
	s_waitcnt vmcnt(5)
	v_mul_f32_e32 v100, v50, v11
	v_fma_f32 v32, v32, v6, -v98
	v_mul_f32_e32 v11, v34, v11
	s_waitcnt vmcnt(4)
	v_mul_f32_e32 v101, v51, v13
	v_fmac_f32_e32 v7, v48, v6
	v_fma_f32 v6, v33, v8, -v99
	v_fmac_f32_e32 v9, v49, v8
	v_fma_f32 v8, v34, v10, -v100
	v_sub_f32_e32 v32, v30, v32
	v_mul_f32_e32 v13, v35, v13
	s_waitcnt vmcnt(3)
	v_mul_f32_e32 v102, v54, v19
	v_mul_f32_e32 v19, v36, v19
	v_fmac_f32_e32 v19, v54, v18
	v_mov_b32_e32 v54, 2
	v_lshlrev_b32_sdwa v21, v54, v21 dst_sel:DWORD dst_unused:UNUSED_PAD src0_sel:DWORD src1_sel:BYTE_0
	s_waitcnt vmcnt(1)
	v_mul_f32_e32 v34, v56, v43
	v_fmac_f32_e32 v11, v50, v10
	v_fma_f32 v10, v35, v12, -v101
	v_fma_f32 v34, v38, v42, -v34
	v_mul_f32_e32 v35, v38, v43
	v_sub_f32_e32 v38, v46, v7
	v_fma_f32 v7, v30, 2.0, -v32
	v_add3_u32 v17, 0, v17, v21
	v_sub_f32_e32 v6, v31, v6
	ds_write2_b32 v17, v7, v32 offset1:17
	v_mul_u32_u24_e32 v7, 0x88, v23
	v_lshlrev_b32_sdwa v21, v54, v25 dst_sel:DWORD dst_unused:UNUSED_PAD src0_sel:DWORD src1_sel:BYTE_0
	v_fma_f32 v31, v31, 2.0, -v6
	v_add3_u32 v32, 0, v7, v21
	ds_write2_b32 v32, v31, v6 offset1:17
	v_perm_b32 v6, v61, v58, s0
	v_pk_mul_lo_u16 v6, v6, s1 op_sel_hi:[1,0]
	v_mul_f32_e32 v103, v55, v41
	v_mul_f32_e32 v33, v37, v41
	v_sub_f32_e32 v8, v93, v8
	v_and_b32_e32 v7, 0xfff8, v6
	v_lshlrev_b32_e32 v21, 2, v59
	v_fmac_f32_e32 v13, v51, v12
	v_fma_f32 v12, v36, v18, -v102
	v_fma_f32 v18, v37, v40, -v103
	v_fmac_f32_e32 v33, v55, v40
	v_fma_f32 v40, v93, 2.0, -v8
	v_add3_u32 v31, 0, v7, v21
	v_lshrrev_b32_e32 v6, 16, v6
	v_lshlrev_b32_e32 v7, 2, v62
	v_sub_f32_e32 v10, v28, v10
	ds_write2_b32 v31, v40, v8 offset1:17
	v_add3_u32 v8, 0, v6, v7
	v_perm_b32 v6, v67, v64, s0
	v_fmac_f32_e32 v35, v56, v42
	v_sub_f32_e32 v42, v77, v13
	v_fma_f32 v13, v28, 2.0, -v10
	v_pk_mul_lo_u16 v6, v6, s1 op_sel_hi:[1,0]
	v_sub_f32_e32 v12, v26, v12
	ds_write2_b32 v8, v13, v10 offset1:17
	v_and_b32_e32 v7, 0xfff8, v6
	v_lshlrev_b32_e32 v10, 2, v65
	v_fma_f32 v26, v26, 2.0, -v12
	v_add3_u32 v10, 0, v7, v10
	v_lshrrev_b32_e32 v6, 16, v6
	v_lshlrev_b32_e32 v7, 2, v68
	ds_write2_b32 v10, v26, v12 offset1:17
	v_add3_u32 v26, 0, v6, v7
	v_perm_b32 v6, v73, v70, s0
	s_waitcnt vmcnt(0)
	v_mul_f32_e32 v36, v57, v45
	v_sub_f32_e32 v18, v24, v18
	v_pk_mul_lo_u16 v6, v6, s1 op_sel_hi:[1,0]
	v_fma_f32 v36, v39, v44, -v36
	v_mul_f32_e32 v37, v39, v45
	v_fma_f32 v24, v24, 2.0, -v18
	v_sub_f32_e32 v34, v22, v34
	v_and_b32_e32 v7, 0xfff8, v6
	v_lshlrev_b32_e32 v12, 2, v71
	v_fmac_f32_e32 v37, v57, v44
	v_fma_f32 v22, v22, 2.0, -v34
	v_sub_f32_e32 v36, v20, v36
	ds_write2_b32 v26, v24, v18 offset1:17
	v_add3_u32 v18, 0, v7, v12
	v_lshrrev_b32_e32 v6, 16, v6
	v_lshlrev_b32_e32 v7, 2, v74
	v_fma_f32 v30, v46, 2.0, -v38
	v_sub_f32_e32 v9, v47, v9
	v_sub_f32_e32 v11, v75, v11
	;; [unrolled: 1-line block ×6, first 2 shown]
	v_fma_f32 v20, v20, 2.0, -v36
	ds_write2_b32 v18, v22, v34 offset1:17
	v_add3_u32 v34, 0, v6, v7
	v_fma_f32 v39, v47, 2.0, -v9
	v_fma_f32 v41, v75, 2.0, -v11
	;; [unrolled: 1-line block ×7, first 2 shown]
	ds_write2_b32 v34, v20, v36 offset1:17
	s_waitcnt lgkmcnt(0)
	s_barrier
	ds_read2_b32 v[6:7], v76 offset1:102
	ds_read2_b32 v[24:25], v89 offset0:48 offset1:150
	ds_read2_b32 v[22:23], v14 offset0:124 offset1:226
	;; [unrolled: 1-line block ×4, first 2 shown]
	ds_read_b32 v55, v78
	ds_read_b32 v56, v87
	;; [unrolled: 1-line block ×6, first 2 shown]
	s_waitcnt lgkmcnt(0)
	s_barrier
	ds_write2_b32 v17, v30, v38 offset1:17
	ds_write2_b32 v32, v39, v9 offset1:17
	;; [unrolled: 1-line block ×8, first 2 shown]
	v_lshrrev_b16_e32 v8, 13, v15
	v_mul_lo_u16_e32 v9, 34, v8
	v_lshrrev_b16_e32 v11, 13, v29
	v_lshrrev_b32_e32 v18, 21, v53
	v_lshrrev_b32_e32 v68, 21, v60
	v_sub_u16_e32 v9, v0, v9
	v_mul_lo_u16_e32 v15, 34, v11
	v_mul_lo_u16_e32 v19, 34, v18
	;; [unrolled: 1-line block ×3, first 2 shown]
	v_lshlrev_b32_sdwa v10, v27, v9 dst_sel:DWORD dst_unused:UNUSED_PAD src0_sel:DWORD src1_sel:BYTE_0
	v_sub_u16_e32 v15, v52, v15
	v_sub_u16_e32 v19, v85, v19
	;; [unrolled: 1-line block ×3, first 2 shown]
	s_waitcnt lgkmcnt(0)
	s_barrier
	v_lshlrev_b32_sdwa v17, v27, v15 dst_sel:DWORD dst_unused:UNUSED_PAD src0_sel:DWORD src1_sel:BYTE_0
	v_lshlrev_b32_e32 v34, 3, v19
	v_lshlrev_b32_e32 v35, 3, v70
	global_load_dwordx2 v[32:33], v10, s[4:5] offset:136
	global_load_dwordx2 v[30:31], v17, s[4:5] offset:136
	;; [unrolled: 1-line block ×4, first 2 shown]
	v_lshrrev_b32_e32 v10, 21, v63
	v_lshrrev_b32_e32 v71, 21, v66
	v_mul_lo_u16_e32 v17, 34, v10
	v_mul_lo_u16_e32 v35, 34, v71
	v_sub_u16_e32 v17, v83, v17
	v_sub_u16_e32 v73, v82, v35
	v_lshrrev_b32_e32 v74, 21, v69
	v_lshlrev_b32_e32 v34, 3, v17
	v_lshlrev_b32_e32 v35, 3, v73
	v_mul_lo_u16_e32 v36, 34, v74
	v_sub_u16_e32 v75, v92, v36
	global_load_dwordx2 v[42:43], v34, s[4:5] offset:136
	global_load_dwordx2 v[40:41], v35, s[4:5] offset:136
	v_lshlrev_b32_e32 v36, 3, v75
	global_load_dwordx2 v[38:39], v36, s[4:5] offset:136
	v_mul_lo_u16_e32 v34, 34, v72
	v_sub_u16_e32 v77, v91, v34
	v_lshlrev_b32_e32 v34, 3, v77
	global_load_dwordx2 v[36:37], v34, s[4:5] offset:136
	ds_read2_b32 v[34:35], v76 offset1:102
	ds_read2_b32 v[50:51], v89 offset0:48 offset1:150
	ds_read2_b32 v[48:49], v14 offset0:124 offset1:226
	;; [unrolled: 1-line block ×4, first 2 shown]
	ds_read_b32 v63, v78
	ds_read_b32 v62, v87
	;; [unrolled: 1-line block ×6, first 2 shown]
	v_mul_u32_u24_e32 v8, 0x110, v8
	v_lshlrev_b32_sdwa v9, v54, v9 dst_sel:DWORD dst_unused:UNUSED_PAD src0_sel:DWORD src1_sel:BYTE_0
	s_waitcnt lgkmcnt(0)
	s_barrier
	s_movk_i32 s1, 0x110
	s_waitcnt vmcnt(7)
	v_mul_f32_e32 v53, v50, v33
	v_fma_f32 v53, v24, v32, -v53
	v_sub_f32_e32 v94, v6, v53
	s_waitcnt vmcnt(6)
	v_mul_f32_e32 v66, v51, v31
	v_fma_f32 v6, v6, 2.0, -v94
	v_fma_f32 v66, v25, v30, -v66
	v_sub_f32_e32 v66, v7, v66
	v_fma_f32 v7, v7, 2.0, -v66
	s_waitcnt vmcnt(5)
	v_mul_f32_e32 v69, v48, v29
	v_fma_f32 v69, v22, v28, -v69
	v_sub_f32_e32 v69, v55, v69
	v_fma_f32 v55, v55, 2.0, -v69
	s_waitcnt vmcnt(4)
	v_mul_f32_e32 v89, v49, v27
	v_fma_f32 v89, v23, v26, -v89
	v_sub_f32_e32 v89, v56, v89
	s_waitcnt vmcnt(3)
	v_mul_f32_e32 v90, v46, v43
	s_waitcnt vmcnt(2)
	v_mul_f32_e32 v91, v47, v41
	v_fma_f32 v91, v21, v40, -v91
	s_waitcnt vmcnt(1)
	v_mul_f32_e32 v92, v44, v39
	v_sub_f32_e32 v91, v64, v91
	v_fma_f32 v92, v12, v38, -v92
	v_fma_f32 v95, v64, 2.0, -v91
	v_add3_u32 v64, 0, v8, v9
	v_sub_f32_e32 v92, v65, v92
	ds_write2_b32 v64, v6, v94 offset1:34
	v_mul_u32_u24_e32 v6, 0x110, v11
	v_lshlrev_b32_sdwa v8, v54, v15 dst_sel:DWORD dst_unused:UNUSED_PAD src0_sel:DWORD src1_sel:BYTE_0
	v_fma_f32 v96, v65, 2.0, -v92
	v_add3_u32 v65, 0, v6, v8
	v_perm_b32 v6, v68, v18, s0
	s_waitcnt vmcnt(0)
	v_mul_f32_e32 v93, v45, v37
	v_pk_mul_lo_u16 v6, v6, s1 op_sel_hi:[1,0]
	v_fma_f32 v93, v13, v36, -v93
	ds_write2_b32 v65, v7, v66 offset1:34
	v_and_b32_e32 v7, 0xfff0, v6
	v_lshlrev_b32_e32 v8, 2, v19
	v_sub_f32_e32 v53, v67, v93
	v_add3_u32 v66, 0, v7, v8
	v_lshrrev_b32_e32 v6, 16, v6
	v_lshlrev_b32_e32 v7, 2, v70
	v_fma_f32 v93, v67, 2.0, -v53
	v_add3_u32 v67, 0, v6, v7
	v_perm_b32 v6, v71, v10, s0
	v_pk_mul_lo_u16 v6, v6, s1 op_sel_hi:[1,0]
	v_lshlrev_b32_e32 v8, 2, v17
	v_and_b32_e32 v7, 0xfff0, v6
	v_add3_u32 v68, 0, v7, v8
	v_lshrrev_b32_e32 v6, 16, v6
	v_lshlrev_b32_e32 v7, 2, v73
	ds_write2_b32 v66, v55, v69 offset1:34
	v_add3_u32 v69, 0, v6, v7
	v_perm_b32 v6, v72, v74, s0
	v_pk_mul_lo_u16 v6, v6, s1 op_sel_hi:[1,0]
	v_fma_f32 v90, v20, v42, -v90
	v_and_b32_e32 v7, 0xfff0, v6
	v_lshlrev_b32_e32 v8, 2, v75
	v_sub_f32_e32 v90, v57, v90
	v_add3_u32 v70, 0, v7, v8
	v_lshrrev_b32_e32 v6, 16, v6
	v_lshlrev_b32_e32 v7, 2, v77
	v_fma_f32 v56, v56, 2.0, -v89
	v_fma_f32 v57, v57, 2.0, -v90
	v_add3_u32 v71, 0, v6, v7
	v_add_u32_e32 v73, 0x800, v76
	v_add_u32_e32 v72, 0xa00, v76
	ds_write2_b32 v67, v56, v89 offset1:34
	ds_write2_b32 v68, v57, v90 offset1:34
	;; [unrolled: 1-line block ×5, first 2 shown]
	s_waitcnt lgkmcnt(0)
	s_barrier
	ds_read2_b32 v[6:7], v76 offset1:102
	ds_read2_b32 v[18:19], v73 offset0:32 offset1:134
	ds_read2_b32 v[8:9], v14 offset0:56 offset1:192
	;; [unrolled: 1-line block ×5, first 2 shown]
	ds_read_b32 v56, v78
	ds_read_b32 v55, v87
	;; [unrolled: 1-line block ×3, first 2 shown]
	v_cmp_gt_u32_e64 s[0:1], 34, v0
                                        ; implicit-def: $vgpr57
	s_and_saveexec_b64 s[2:3], s[0:1]
	s_cbranch_execz .LBB0_17
; %bb.16:
	ds_read_b32 v1, v76 offset:4216
	ds_read_b32 v53, v86
	ds_read_b32 v57, v76 offset:6392
.LBB0_17:
	s_or_b64 exec, exec, s[2:3]
	v_mul_f32_e32 v24, v24, v33
	v_fmac_f32_e32 v24, v50, v32
	v_mul_f32_e32 v25, v25, v31
	v_mul_f32_e32 v22, v22, v29
	;; [unrolled: 1-line block ×7, first 2 shown]
	v_fmac_f32_e32 v25, v51, v30
	v_fmac_f32_e32 v22, v48, v28
	;; [unrolled: 1-line block ×7, first 2 shown]
	v_sub_f32_e32 v24, v34, v24
	v_fma_f32 v26, v34, 2.0, -v24
	v_sub_f32_e32 v25, v35, v25
	v_sub_f32_e32 v22, v63, v22
	;; [unrolled: 1-line block ×7, first 2 shown]
	v_fma_f32 v27, v35, 2.0, -v25
	v_fma_f32 v28, v63, 2.0, -v22
	;; [unrolled: 1-line block ×7, first 2 shown]
	s_waitcnt lgkmcnt(0)
	s_barrier
	ds_write2_b32 v64, v26, v24 offset1:34
	ds_write2_b32 v65, v27, v25 offset1:34
	;; [unrolled: 1-line block ×8, first 2 shown]
	v_add_u32_e32 v20, 0xe00, v76
	v_add_u32_e32 v22, 0x1200, v76
	s_waitcnt lgkmcnt(0)
	s_barrier
	ds_read2_b32 v[12:13], v76 offset1:102
	ds_read2_b32 v[28:29], v73 offset0:32 offset1:134
	ds_read2_b32 v[20:21], v20 offset0:56 offset1:192
	;; [unrolled: 1-line block ×4, first 2 shown]
	v_add_u32_e32 v22, 0x1400, v76
	ds_read2_b32 v[22:23], v22 offset0:114 offset1:216
	ds_read_b32 v33, v78
	ds_read_b32 v32, v87
	;; [unrolled: 1-line block ×3, first 2 shown]
                                        ; implicit-def: $vgpr34
	s_and_saveexec_b64 s[2:3], s[0:1]
	s_cbranch_execz .LBB0_19
; %bb.18:
	ds_read_b32 v81, v76 offset:4216
	ds_read_b32 v30, v86
	ds_read_b32 v34, v76 offset:6392
.LBB0_19:
	s_or_b64 exec, exec, s[2:3]
	s_movk_i32 s2, 0x44
	v_add_u32_e32 v35, 0xffffffbc, v0
	v_cmp_gt_u32_e64 s[2:3], s2, v0
	v_mov_b32_e32 v37, 0
	s_movk_i32 s8, 0x330
	v_cndmask_b32_e64 v50, v35, v0, s[2:3]
	s_movk_i32 s2, 0x79
	v_mul_lo_u16_sdwa v35, v52, s2 dst_sel:DWORD dst_unused:UNUSED_PAD src0_sel:BYTE_0 src1_sel:DWORD
	v_lshrrev_b16_e32 v51, 13, v35
	v_mul_lo_u16_e32 v35, 0x44, v51
	v_lshlrev_b32_e32 v36, 1, v50
	v_sub_u16_e32 v74, v52, v35
	v_mov_b32_e32 v35, 4
	v_lshl_add_u64 v[36:37], v[36:37], 3, s[4:5]
	v_lshlrev_b32_sdwa v35, v35, v74 dst_sel:DWORD dst_unused:UNUSED_PAD src0_sel:DWORD src1_sel:BYTE_0
	s_mov_b32 s2, 0xf0f1
	global_load_dwordx4 v[38:41], v[36:37], off offset:408
	global_load_dwordx4 v[46:49], v35, s[4:5] offset:408
	v_mul_u32_u24_sdwa v35, v85, s2 dst_sel:DWORD dst_unused:UNUSED_PAD src0_sel:WORD_0 src1_sel:DWORD
	v_lshrrev_b32_e32 v75, 22, v35
	v_mul_lo_u16_e32 v35, 0x44, v75
	v_mul_u32_u24_sdwa v36, v84, s2 dst_sel:DWORD dst_unused:UNUSED_PAD src0_sel:WORD_0 src1_sel:DWORD
	v_sub_u16_e32 v77, v85, v35
	v_lshrrev_b32_e32 v85, 22, v36
	v_mul_lo_u16_e32 v36, 0x44, v85
	v_lshlrev_b32_e32 v35, 4, v77
	v_sub_u16_e32 v84, v84, v36
	v_lshlrev_b32_e32 v36, 4, v84
	global_load_dwordx4 v[58:61], v35, s[4:5] offset:408
	global_load_dwordx4 v[62:65], v36, s[4:5] offset:408
	v_mul_u32_u24_sdwa v35, v83, s2 dst_sel:DWORD dst_unused:UNUSED_PAD src0_sel:WORD_0 src1_sel:DWORD
	v_lshrrev_b32_e32 v86, 22, v35
	v_mul_lo_u16_e32 v35, 0x44, v86
	v_sub_u16_e32 v83, v83, v35
	v_lshlrev_b32_e32 v35, 4, v83
	global_load_dwordx4 v[66:69], v35, s[4:5] offset:408
	v_mul_u32_u24_sdwa v36, v82, s2 dst_sel:DWORD dst_unused:UNUSED_PAD src0_sel:WORD_0 src1_sel:DWORD
	v_lshrrev_b32_e32 v36, 22, v36
	v_mul_lo_u16_e32 v35, 0x44, v36
	v_sub_u16_e32 v82, v82, v35
	v_lshlrev_b32_e32 v35, 4, v82
	global_load_dwordx4 v[70:73], v35, s[4:5] offset:408
	s_movk_i32 s2, 0x43
	v_cmp_lt_u32_e64 s[2:3], s2, v0
	s_waitcnt lgkmcnt(0)
	s_barrier
	s_waitcnt vmcnt(5)
	v_mul_f32_e32 v35, v28, v39
	v_mul_f32_e32 v39, v18, v39
	v_mul_f32_e32 v36, v21, v41
	v_mul_f32_e32 v42, v9, v41
	v_fma_f32 v41, v18, v38, -v35
	v_fmac_f32_e32 v39, v28, v38
	v_fma_f32 v44, v9, v40, -v36
	v_fmac_f32_e32 v42, v21, v40
	s_waitcnt vmcnt(4)
	v_mul_f32_e32 v45, v29, v47
	v_mul_f32_e32 v40, v19, v47
	v_mul_f32_e32 v47, v26, v49
	v_mul_f32_e32 v43, v14, v49
	s_waitcnt vmcnt(3)
	v_mul_f32_e32 v49, v24, v59
	v_mul_f32_e32 v37, v16, v59
	v_mul_f32_e32 v59, v27, v61
	v_mul_f32_e32 v38, v15, v61
	;; [unrolled: 5-line block ×3, first 2 shown]
	s_waitcnt vmcnt(1)
	v_mul_f32_e32 v65, v20, v67
	v_mul_f32_e32 v9, v8, v67
	;; [unrolled: 1-line block ×3, first 2 shown]
	v_fma_f32 v45, v19, v46, -v45
	v_fmac_f32_e32 v40, v29, v46
	v_fma_f32 v29, v14, v48, -v47
	v_fma_f32 v14, v17, v62, -v61
	v_add_f32_e32 v17, v41, v44
	v_mul_f32_e32 v18, v11, v69
	v_fmac_f32_e32 v43, v26, v48
	v_fma_f32 v16, v16, v58, -v49
	v_fma_f32 v19, v15, v60, -v59
	;; [unrolled: 1-line block ×3, first 2 shown]
	v_fmac_f32_e32 v36, v22, v64
	v_fma_f32 v10, v11, v68, -v67
	v_add_f32_e32 v11, v6, v41
	v_fma_f32 v6, -0.5, v17, v6
	v_sub_f32_e32 v17, v39, v42
	v_add_f32_e32 v22, v45, v29
	v_fmac_f32_e32 v37, v24, v58
	v_fmac_f32_e32 v38, v27, v60
	;; [unrolled: 1-line block ×4, first 2 shown]
	v_fmamk_f32 v20, v17, 0x3f5db3d7, v6
	v_fmac_f32_e32 v6, 0xbf5db3d7, v17
	v_add_f32_e32 v17, v7, v45
	v_fmac_f32_e32 v7, -0.5, v22
	v_sub_f32_e32 v22, v40, v43
	v_add_f32_e32 v25, v16, v19
	v_fmamk_f32 v24, v22, 0x3f5db3d7, v7
	v_fmac_f32_e32 v7, 0xbf5db3d7, v22
	v_add_f32_e32 v22, v56, v16
	v_fmac_f32_e32 v56, -0.5, v25
	v_sub_f32_e32 v25, v37, v38
	v_fmamk_f32 v26, v25, 0x3f5db3d7, v56
	v_fmac_f32_e32 v56, 0xbf5db3d7, v25
	v_add_f32_e32 v25, v55, v14
	v_add_f32_e32 v47, v25, v15
	;; [unrolled: 1-line block ×3, first 2 shown]
	v_fma_f32 v8, v8, v66, -v65
	v_fmac_f32_e32 v55, -0.5, v25
	v_sub_f32_e32 v25, v35, v36
	v_fmamk_f32 v48, v25, 0x3f5db3d7, v55
	v_fmac_f32_e32 v55, 0xbf5db3d7, v25
	v_add_f32_e32 v25, v54, v8
	v_fmac_f32_e32 v18, v23, v68
	v_add_f32_e32 v49, v25, v10
	v_add_f32_e32 v25, v8, v10
	s_waitcnt vmcnt(0)
	v_mul_f32_e32 v69, v81, v71
	v_mul_f32_e32 v21, v1, v71
	;; [unrolled: 1-line block ×3, first 2 shown]
	v_fmac_f32_e32 v54, -0.5, v25
	v_sub_f32_e32 v25, v9, v18
	v_mul_f32_e32 v28, v57, v73
	v_fma_f32 v23, v57, v72, -v71
	v_fmamk_f32 v57, v25, 0x3f5db3d7, v54
	v_fmac_f32_e32 v54, 0xbf5db3d7, v25
	v_mov_b32_e32 v25, 0x330
	v_cndmask_b32_e64 v25, 0, v25, s[2:3]
	v_lshlrev_b32_e32 v27, 2, v50
	v_add_f32_e32 v11, v11, v44
	v_add3_u32 v25, 0, v25, v27
	ds_write2_b32 v25, v11, v20 offset1:68
	ds_write_b32 v25, v6 offset:544
	v_mov_b32_e32 v11, 2
	v_mul_u32_u24_e32 v6, 0x330, v51
	v_lshlrev_b32_sdwa v11, v11, v74 dst_sel:DWORD dst_unused:UNUSED_PAD src0_sel:DWORD src1_sel:BYTE_0
	s_mov_b32 s2, 0x5040100
	v_add3_u32 v27, 0, v6, v11
	v_perm_b32 v6, v85, v75, s2
	v_add_f32_e32 v17, v17, v29
	v_pk_mul_lo_u16 v6, v6, s8 op_sel_hi:[1,0]
	ds_write2_b32 v27, v17, v24 offset1:68
	ds_write_b32 v27, v7 offset:544
	v_and_b32_e32 v7, 0xfff0, v6
	v_lshlrev_b32_e32 v11, 2, v77
	v_fmac_f32_e32 v28, v34, v72
	v_add3_u32 v34, 0, v7, v11
	v_lshrrev_b32_e32 v6, 16, v6
	v_lshlrev_b32_e32 v7, 2, v84
	v_add_f32_e32 v22, v22, v19
	v_add3_u32 v46, 0, v6, v7
	v_mul_u32_u24_e32 v6, 0x330, v86
	v_lshlrev_b32_e32 v7, 2, v83
	v_fma_f32 v1, v1, v70, -v69
	v_fmac_f32_e32 v21, v81, v70
	ds_write2_b32 v34, v22, v26 offset1:68
	ds_write_b32 v34, v56 offset:544
	ds_write2_b32 v46, v47, v48 offset1:68
	ds_write_b32 v46, v55 offset:544
	v_add3_u32 v47, 0, v6, v7
	v_lshl_add_u32 v26, v82, 2, 0
	ds_write2_b32 v47, v49, v57 offset1:68
	ds_write_b32 v47, v54 offset:544
	s_and_saveexec_b64 s[2:3], s[0:1]
	s_cbranch_execz .LBB0_21
; %bb.20:
	v_add_f32_e32 v6, v1, v23
	v_fma_f32 v6, -0.5, v6, v53
	v_sub_f32_e32 v7, v21, v28
	v_fmamk_f32 v11, v7, 0xbf5db3d7, v6
	v_fmac_f32_e32 v6, 0x3f5db3d7, v7
	v_add_f32_e32 v7, v53, v1
	v_add_f32_e32 v7, v7, v23
	v_add_u32_e32 v17, 0x1400, v26
	ds_write2_b32 v17, v7, v6 offset0:148 offset1:216
	ds_write_b32 v26, v11 offset:6256
.LBB0_21:
	s_or_b64 exec, exec, s[2:3]
	v_add_f32_e32 v6, v12, v39
	v_add_f32_e32 v48, v6, v42
	;; [unrolled: 1-line block ×3, first 2 shown]
	v_fma_f32 v39, -0.5, v6, v12
	v_sub_f32_e32 v6, v41, v44
	v_fmamk_f32 v41, v6, 0xbf5db3d7, v39
	v_fmac_f32_e32 v39, 0x3f5db3d7, v6
	v_add_f32_e32 v6, v13, v40
	v_add_f32_e32 v42, v6, v43
	v_add_f32_e32 v6, v40, v43
	v_fmac_f32_e32 v13, -0.5, v6
	v_sub_f32_e32 v6, v45, v29
	v_fmamk_f32 v29, v6, 0xbf5db3d7, v13
	v_fmac_f32_e32 v13, 0x3f5db3d7, v6
	v_add_f32_e32 v6, v33, v37
	v_add_f32_e32 v40, v6, v38
	v_add_f32_e32 v6, v37, v38
	v_fmac_f32_e32 v33, -0.5, v6
	;; [unrolled: 7-line block ×4, first 2 shown]
	v_sub_f32_e32 v6, v8, v10
	v_fmamk_f32 v43, v6, 0xbf5db3d7, v31
	v_fmac_f32_e32 v31, 0x3f5db3d7, v6
	v_add_u32_e32 v6, 0xa00, v76
	s_waitcnt lgkmcnt(0)
	s_barrier
	ds_read2_b32 v[14:15], v76 offset1:102
	ds_read_b32 v22, v79
	ds_read_b32 v20, v80
	ds_read2_b32 v[10:11], v6 offset0:74 offset1:176
	v_add_u32_e32 v6, 0xc00, v76
	v_add_u32_e32 v8, 0x1400, v76
	ds_read2_b32 v[18:19], v6 offset0:150 offset1:252
	v_add_u32_e32 v6, 0x1000, v76
	ds_read2_b32 v[16:17], v8 offset0:46 offset1:148
	;; [unrolled: 2-line block ×3, first 2 shown]
	ds_read2_b32 v[8:9], v8 offset0:50 offset1:254
	ds_read_b32 v24, v78
	ds_read_b32 v12, v76 offset:6120
	s_waitcnt lgkmcnt(0)
	s_barrier
	ds_write2_b32 v25, v48, v41 offset1:68
	ds_write_b32 v25, v39 offset:544
	ds_write2_b32 v27, v42, v29 offset1:68
	ds_write_b32 v27, v13 offset:544
	;; [unrolled: 2-line block ×5, first 2 shown]
	s_and_saveexec_b64 s[2:3], s[0:1]
	s_cbranch_execz .LBB0_23
; %bb.22:
	v_add_f32_e32 v13, v30, v21
	v_add_f32_e32 v21, v21, v28
	v_fmac_f32_e32 v30, -0.5, v21
	v_sub_f32_e32 v1, v1, v23
	v_add_f32_e32 v13, v13, v28
	v_fmamk_f32 v21, v1, 0xbf5db3d7, v30
	v_add_u32_e32 v23, 0x1400, v26
	v_fmamk_f32 v1, v1, 0x3f5db3d7, v30
	ds_write2_b32 v23, v13, v21 offset0:148 offset1:216
	ds_write_b32 v26, v1 offset:6256
.LBB0_23:
	s_or_b64 exec, exec, s[2:3]
	s_waitcnt lgkmcnt(0)
	s_barrier
	s_and_saveexec_b64 s[0:1], vcc
	s_cbranch_execz .LBB0_25
; %bb.24:
	v_mul_u32_u24_e32 v1, 7, v0
	v_lshlrev_b32_e32 v1, 3, v1
	global_load_dwordx4 v[28:31], v1, s[4:5] offset:1512
	global_load_dwordx4 v[32:35], v1, s[4:5] offset:1496
	;; [unrolled: 1-line block ×3, first 2 shown]
	global_load_dwordx2 v[54:55], v1, s[4:5] offset:1544
	v_mul_lo_u32 v13, s7, v4
	v_mul_lo_u32 v21, s6, v5
	v_mad_u64_u32 v[40:41], s[0:1], s6, v4, 0
	v_mul_u32_u24_e32 v23, 7, v52
	v_add_u32_e32 v25, 0x400, v76
	v_add_u32_e32 v42, 0xc00, v76
	;; [unrolled: 1-line block ×4, first 2 shown]
	v_mov_b32_e32 v66, v14
	v_mov_b32_e32 v14, v7
	;; [unrolled: 1-line block ×3, first 2 shown]
	v_add3_u32 v41, v41, v21, v13
	v_lshlrev_b32_e32 v7, 3, v23
	v_add_u32_e32 v27, 0x1400, v76
	ds_read2_b32 v[4:5], v76 offset1:102
	ds_read_b32 v26, v76 offset:6120
	ds_read_b32 v56, v80
	ds_read_b32 v58, v79
	;; [unrolled: 1-line block ×3, first 2 shown]
	ds_read2_b32 v[78:79], v25 offset0:50 offset1:254
	ds_read2_b32 v[80:81], v27 offset0:46 offset1:148
	;; [unrolled: 1-line block ×5, first 2 shown]
	v_lshl_add_u64 v[88:89], v[40:41], 3, s[10:11]
	global_load_dwordx4 v[40:43], v7, s[4:5] offset:1512
	global_load_dwordx4 v[44:47], v7, s[4:5] offset:1496
	;; [unrolled: 1-line block ×3, first 2 shown]
	global_load_dwordx2 v[90:91], v7, s[4:5] offset:1544
	v_mov_b32_e32 v1, 0
	v_lshl_add_u64 v[2:3], v[2:3], 3, v[88:89]
	v_lshl_add_u64 v[2:3], v[0:1], 3, v[2:3]
	s_waitcnt lgkmcnt(9)
	v_mov_b32_e32 v67, v4
	s_waitcnt lgkmcnt(0)
	v_mov_b32_e32 v0, v87
	v_mov_b32_e32 v4, v85
	;; [unrolled: 1-line block ×10, first 2 shown]
	s_movk_i32 s1, 0x1000
	s_mov_b32 s0, 0x3f3504f3
	s_waitcnt vmcnt(7)
	v_mov_b32_e32 v94, v31
	v_mov_b32_e32 v95, v30
	s_waitcnt vmcnt(6)
	v_pk_mul_f32 v[58:59], v[34:35], v[58:59] op_sel_hi:[1,0]
	s_waitcnt vmcnt(5)
	v_pk_mul_f32 v[96:97], v[38:39], v[4:5] op_sel_hi:[1,0]
	v_pk_mul_f32 v[56:57], v[56:57], v[28:29] op_sel:[0,1] op_sel_hi:[0,0]
	s_waitcnt vmcnt(4)
	v_pk_mul_f32 v[88:89], v[88:89], v[54:55] op_sel:[0,1] op_sel_hi:[0,0]
	v_pk_mul_f32 v[60:61], v[32:33], v[60:61] op_sel_hi:[1,0]
	v_pk_mul_f32 v[92:93], v[36:37], v[92:93] op_sel_hi:[1,0]
	v_pk_mul_f32 v[94:95], v[0:1], v[94:95] op_sel_hi:[0,1]
	v_pk_fma_f32 v[98:99], v[22:23], v[34:35], v[58:59] op_sel:[0,0,1] op_sel_hi:[1,1,0] neg_lo:[0,0,1] neg_hi:[0,0,1]
	v_pk_fma_f32 v[22:23], v[22:23], v[34:35], v[58:59] op_sel:[0,0,1] op_sel_hi:[0,1,0]
	v_pk_fma_f32 v[34:35], v[14:15], v[38:39], v[96:97] op_sel:[0,0,1] op_sel_hi:[1,1,0] neg_lo:[0,0,1] neg_hi:[0,0,1]
	v_pk_fma_f32 v[38:39], v[68:69], v[38:39], v[96:97] op_sel:[0,0,1] op_sel_hi:[0,1,0]
	v_pk_fma_f32 v[58:59], v[20:21], v[28:29], v[56:57] neg_lo:[0,0,1] neg_hi:[0,0,1]
	v_pk_fma_f32 v[20:21], v[20:21], v[28:29], v[56:57] op_sel_hi:[0,1,1]
	v_pk_fma_f32 v[28:29], v[70:71], v[54:55], v[88:89] neg_lo:[0,0,1] neg_hi:[0,0,1]
	v_pk_fma_f32 v[54:55], v[72:73], v[54:55], v[88:89] op_sel_hi:[0,1,1]
	v_pk_fma_f32 v[56:57], v[24:25], v[32:33], v[60:61] op_sel:[0,0,1] op_sel_hi:[1,1,0] neg_lo:[0,0,1] neg_hi:[0,0,1]
	v_pk_fma_f32 v[24:25], v[24:25], v[32:33], v[60:61] op_sel:[0,0,1] op_sel_hi:[0,1,0]
	v_pk_fma_f32 v[32:33], v[74:75], v[36:37], v[92:93] op_sel:[0,0,1] op_sel_hi:[1,1,0] neg_lo:[0,0,1] neg_hi:[0,0,1]
	v_pk_fma_f32 v[36:37], v[76:77], v[36:37], v[92:93] op_sel:[0,0,1] op_sel_hi:[0,1,0]
	v_pk_fma_f32 v[60:61], v[62:63], v[30:31], v[94:95] neg_lo:[0,0,1] neg_hi:[0,0,1]
	v_pk_fma_f32 v[30:31], v[64:65], v[30:31], v[94:95] op_sel_hi:[0,1,1]
	v_mov_b32_e32 v99, v23
	v_mov_b32_e32 v35, v39
	;; [unrolled: 1-line block ×7, first 2 shown]
	v_pk_add_f32 v[20:21], v[98:99], v[34:35] neg_lo:[0,1] neg_hi:[0,1]
	v_pk_add_f32 v[22:23], v[58:59], v[28:29] neg_lo:[0,1] neg_hi:[0,1]
	;; [unrolled: 1-line block ×4, first 2 shown]
	v_pk_fma_f32 v[30:31], v[98:99], 2.0, v[20:21] op_sel_hi:[1,0,1] neg_lo:[0,0,1] neg_hi:[0,0,1]
	v_pk_fma_f32 v[32:33], v[56:57], 2.0, v[24:25] op_sel_hi:[1,0,1] neg_lo:[0,0,1] neg_hi:[0,0,1]
	;; [unrolled: 1-line block ×4, first 2 shown]
	v_pk_add_f32 v[30:31], v[34:35], v[30:31] neg_lo:[0,1] neg_hi:[0,1]
	v_pk_add_f32 v[36:37], v[32:33], v[36:37] neg_lo:[0,1] neg_hi:[0,1]
	v_pk_fma_f32 v[34:35], v[34:35], 2.0, v[30:31] op_sel_hi:[1,0,1] neg_lo:[0,0,1] neg_hi:[0,0,1]
	v_pk_fma_f32 v[32:33], v[32:33], 2.0, v[36:37] op_sel_hi:[1,0,1] neg_lo:[0,0,1] neg_hi:[0,0,1]
	v_mov_b32_e32 v4, v15
	v_pk_add_f32 v[32:33], v[34:35], v[32:33] neg_lo:[0,1] neg_hi:[0,1]
	v_mov_b32_e32 v14, v79
	v_pk_fma_f32 v[34:35], v[34:35], 2.0, v[32:33] op_sel_hi:[1,0,1] neg_lo:[0,0,1] neg_hi:[0,0,1]
	global_store_dwordx2 v[2:3], v[34:35], off
	v_pk_add_f32 v[34:35], v[28:29], v[20:21] op_sel:[0,1] op_sel_hi:[1,0] neg_lo:[0,1] neg_hi:[0,1]
	v_pk_add_f32 v[20:21], v[28:29], v[20:21] op_sel:[0,1] op_sel_hi:[1,0]
	s_waitcnt vmcnt(3)
	v_pk_mul_f32 v[14:15], v[46:47], v[14:15] op_sel_hi:[1,0]
	v_mov_b32_e32 v35, v21
	v_pk_add_f32 v[20:21], v[24:25], v[22:23] op_sel:[0,1] op_sel_hi:[1,0] neg_lo:[0,1] neg_hi:[0,1]
	v_pk_add_f32 v[22:23], v[24:25], v[22:23] op_sel:[0,1] op_sel_hi:[1,0]
	v_pk_fma_f32 v[28:29], v[28:29], 2.0, v[34:35] op_sel_hi:[1,0,1] neg_lo:[0,0,1] neg_hi:[0,0,1]
	v_mov_b32_e32 v21, v23
	v_pk_fma_f32 v[22:23], v[24:25], 2.0, v[20:21] op_sel_hi:[1,0,1] neg_lo:[0,0,1] neg_hi:[0,0,1]
	s_nop 0
	v_pk_mul_f32 v[24:25], v[22:23], s[0:1] op_sel_hi:[1,0]
	v_pk_fma_f32 v[22:23], v[22:23], s[0:1], v[28:29] op_sel_hi:[1,0,1] neg_lo:[1,0,0] neg_hi:[1,0,0]
	s_nop 0
	v_pk_add_f32 v[38:39], v[22:23], v[24:25] op_sel:[0,1] op_sel_hi:[1,0] neg_lo:[0,1] neg_hi:[0,1]
	v_pk_add_f32 v[22:23], v[22:23], v[24:25] op_sel:[0,1] op_sel_hi:[1,0]
	v_pk_add_f32 v[24:25], v[30:31], v[36:37] op_sel:[0,1] op_sel_hi:[1,0]
	v_mov_b32_e32 v39, v23
	v_pk_fma_f32 v[22:23], v[28:29], 2.0, v[38:39] op_sel_hi:[1,0,1] neg_lo:[0,0,1] neg_hi:[0,0,1]
	global_store_dwordx2 v[2:3], v[22:23], off offset:1632
	v_pk_add_f32 v[22:23], v[30:31], v[36:37] op_sel:[0,1] op_sel_hi:[1,0] neg_lo:[0,1] neg_hi:[0,1]
	s_nop 0
	v_mov_b32_e32 v23, v25
	v_pk_fma_f32 v[24:25], v[30:31], 2.0, v[22:23] op_sel_hi:[1,0,1] neg_lo:[0,0,1] neg_hi:[0,0,1]
	global_store_dwordx2 v[2:3], v[24:25], off offset:3264
	v_pk_mul_f32 v[24:25], v[20:21], s[0:1] op_sel_hi:[1,0]
	v_pk_fma_f32 v[20:21], v[20:21], s[0:1], v[34:35] op_sel_hi:[1,0,1]
	s_nop 0
	v_pk_add_f32 v[28:29], v[20:21], v[24:25] op_sel:[0,1] op_sel_hi:[1,0] neg_lo:[0,1] neg_hi:[0,1]
	v_pk_add_f32 v[20:21], v[20:21], v[24:25] op_sel:[0,1] op_sel_hi:[1,0]
	v_add_co_u32_e32 v24, vcc, s1, v2
	v_mov_b32_e32 v29, v21
	v_pk_fma_f32 v[20:21], v[34:35], 2.0, v[28:29] op_sel_hi:[1,0,1] neg_lo:[0,0,1] neg_hi:[0,0,1]
	v_addc_co_u32_e32 v25, vcc, 0, v3, vcc
	s_movk_i32 s1, 0x2000
	global_store_dwordx2 v[24:25], v[20:21], off offset:800
	global_store_dwordx2 v[24:25], v[32:33], off offset:2432
	;; [unrolled: 1-line block ×3, first 2 shown]
	v_add_co_u32_e32 v20, vcc, s1, v2
	s_mov_b32 s1, 0xa0a0a0a1
	v_mul_hi_u32 v0, v52, s1
	v_lshrrev_b32_e32 v0, 7, v0
	v_mul_u32_u24_e32 v0, 0x594, v0
	v_addc_co_u32_e32 v21, vcc, 0, v3, vcc
	v_lshl_add_u64 v[0:1], v[0:1], 3, v[2:3]
	v_mov_b32_e32 v2, v43
	v_mov_b32_e32 v3, v42
	v_pk_mul_f32 v[2:3], v[82:83], v[2:3] op_sel_hi:[0,1]
	global_store_dwordx2 v[20:21], v[22:23], off offset:1600
	global_store_dwordx2 v[20:21], v[28:29], off offset:3232
	v_pk_fma_f32 v[20:21], v[18:19], v[42:43], v[2:3] neg_lo:[0,0,1] neg_hi:[0,0,1]
	v_pk_fma_f32 v[2:3], v[18:19], v[42:43], v[2:3] op_sel_hi:[0,1,1]
	v_mov_b32_e32 v21, v3
	v_pk_add_f32 v[2:3], v[4:5], v[20:21] neg_lo:[0,1] neg_hi:[0,1]
	v_mov_b32_e32 v18, v9
	v_mov_b32_e32 v20, v9
	v_pk_fma_f32 v[18:19], v[18:19], v[46:47], v[14:15] op_sel:[0,0,1] op_sel_hi:[1,1,0] neg_lo:[0,0,1] neg_hi:[0,0,1]
	v_pk_fma_f32 v[14:15], v[20:21], v[46:47], v[14:15] op_sel:[0,0,1] op_sel_hi:[0,1,0]
	v_mov_b32_e32 v19, v15
	s_waitcnt vmcnt(9)
	v_pk_mul_f32 v[14:15], v[50:51], v[80:81] op_sel_hi:[1,0]
	v_pk_fma_f32 v[4:5], v[4:5], 2.0, v[2:3] op_sel_hi:[1,0,1] neg_lo:[0,0,1] neg_hi:[0,0,1]
	v_pk_fma_f32 v[20:21], v[16:17], v[50:51], v[14:15] op_sel:[0,0,1] op_sel_hi:[1,1,0] neg_lo:[0,0,1] neg_hi:[0,0,1]
	v_pk_fma_f32 v[14:15], v[16:17], v[50:51], v[14:15] op_sel:[0,0,1] op_sel_hi:[0,1,0]
	v_mov_b32_e32 v21, v15
	v_pk_mul_f32 v[16:17], v[86:87], v[40:41] op_sel:[0,1] op_sel_hi:[0,0]
	v_pk_add_f32 v[14:15], v[18:19], v[20:21] neg_lo:[0,1] neg_hi:[0,1]
	v_pk_fma_f32 v[20:21], v[10:11], v[40:41], v[16:17] neg_lo:[0,0,1] neg_hi:[0,0,1]
	v_pk_fma_f32 v[10:11], v[10:11], v[40:41], v[16:17] op_sel_hi:[0,1,1]
	v_mov_b32_e32 v21, v11
	s_waitcnt vmcnt(8)
	v_pk_mul_f32 v[10:11], v[26:27], v[90:91] op_sel:[0,1] op_sel_hi:[0,0]
	v_pk_fma_f32 v[16:17], v[12:13], v[90:91], v[10:11] neg_lo:[0,0,1] neg_hi:[0,0,1]
	v_pk_fma_f32 v[10:11], v[12:13], v[90:91], v[10:11] op_sel_hi:[0,1,1]
	v_mov_b32_e32 v17, v11
	v_pk_mul_f32 v[12:13], v[44:45], v[78:79] op_sel_hi:[1,0]
	v_pk_add_f32 v[10:11], v[20:21], v[16:17] neg_lo:[0,1] neg_hi:[0,1]
	v_pk_fma_f32 v[16:17], v[8:9], v[44:45], v[12:13] op_sel:[0,0,1] op_sel_hi:[1,1,0] neg_lo:[0,0,1] neg_hi:[0,0,1]
	v_pk_fma_f32 v[8:9], v[8:9], v[44:45], v[12:13] op_sel:[0,0,1] op_sel_hi:[0,1,0]
	v_mov_b32_e32 v17, v9
	v_pk_mul_f32 v[8:9], v[48:49], v[84:85] op_sel_hi:[1,0]
	s_nop 0
	v_pk_fma_f32 v[12:13], v[6:7], v[48:49], v[8:9] op_sel:[0,0,1] op_sel_hi:[1,1,0] neg_lo:[0,0,1] neg_hi:[0,0,1]
	v_pk_fma_f32 v[6:7], v[6:7], v[48:49], v[8:9] op_sel:[0,0,1] op_sel_hi:[0,1,0]
	v_mov_b32_e32 v13, v7
	v_pk_add_f32 v[6:7], v[16:17], v[12:13] neg_lo:[0,1] neg_hi:[0,1]
	v_pk_fma_f32 v[8:9], v[18:19], 2.0, v[14:15] op_sel_hi:[1,0,1] neg_lo:[0,0,1] neg_hi:[0,0,1]
	v_pk_fma_f32 v[12:13], v[16:17], 2.0, v[6:7] op_sel_hi:[1,0,1] neg_lo:[0,0,1] neg_hi:[0,0,1]
	;; [unrolled: 1-line block ×3, first 2 shown]
	v_pk_add_f32 v[8:9], v[4:5], v[8:9] neg_lo:[0,1] neg_hi:[0,1]
	v_pk_add_f32 v[16:17], v[12:13], v[16:17] neg_lo:[0,1] neg_hi:[0,1]
	v_pk_fma_f32 v[4:5], v[4:5], 2.0, v[8:9] op_sel_hi:[1,0,1] neg_lo:[0,0,1] neg_hi:[0,0,1]
	v_pk_fma_f32 v[12:13], v[12:13], 2.0, v[16:17] op_sel_hi:[1,0,1] neg_lo:[0,0,1] neg_hi:[0,0,1]
	s_nop 0
	v_pk_add_f32 v[12:13], v[4:5], v[12:13] neg_lo:[0,1] neg_hi:[0,1]
	s_nop 0
	v_pk_fma_f32 v[4:5], v[4:5], 2.0, v[12:13] op_sel_hi:[1,0,1] neg_lo:[0,0,1] neg_hi:[0,0,1]
	global_store_dwordx2 v[0:1], v[4:5], off offset:816
	v_pk_add_f32 v[4:5], v[2:3], v[14:15] op_sel:[0,1] op_sel_hi:[1,0] neg_lo:[0,1] neg_hi:[0,1]
	v_pk_add_f32 v[14:15], v[2:3], v[14:15] op_sel:[0,1] op_sel_hi:[1,0]
	s_nop 0
	v_mov_b32_e32 v5, v15
	v_pk_add_f32 v[14:15], v[6:7], v[10:11] op_sel:[0,1] op_sel_hi:[1,0] neg_lo:[0,1] neg_hi:[0,1]
	v_pk_add_f32 v[10:11], v[6:7], v[10:11] op_sel:[0,1] op_sel_hi:[1,0]
	v_pk_fma_f32 v[2:3], v[2:3], 2.0, v[4:5] op_sel_hi:[1,0,1] neg_lo:[0,0,1] neg_hi:[0,0,1]
	v_mov_b32_e32 v15, v11
	v_pk_fma_f32 v[6:7], v[6:7], 2.0, v[14:15] op_sel_hi:[1,0,1] neg_lo:[0,0,1] neg_hi:[0,0,1]
	s_nop 0
	v_pk_mul_f32 v[10:11], v[6:7], s[0:1] op_sel_hi:[1,0]
	v_pk_fma_f32 v[6:7], v[6:7], s[0:1], v[2:3] op_sel_hi:[1,0,1] neg_lo:[1,0,0] neg_hi:[1,0,0]
	s_nop 0
	v_pk_add_f32 v[18:19], v[6:7], v[10:11] op_sel:[0,1] op_sel_hi:[1,0] neg_lo:[0,1] neg_hi:[0,1]
	v_pk_add_f32 v[6:7], v[6:7], v[10:11] op_sel:[0,1] op_sel_hi:[1,0]
	s_nop 0
	v_mov_b32_e32 v19, v7
	v_pk_fma_f32 v[2:3], v[2:3], 2.0, v[18:19] op_sel_hi:[1,0,1] neg_lo:[0,0,1] neg_hi:[0,0,1]
	global_store_dwordx2 v[0:1], v[2:3], off offset:2448
	v_pk_add_f32 v[2:3], v[8:9], v[16:17] op_sel:[0,1] op_sel_hi:[1,0] neg_lo:[0,1] neg_hi:[0,1]
	v_pk_add_f32 v[6:7], v[8:9], v[16:17] op_sel:[0,1] op_sel_hi:[1,0]
	s_nop 0
	v_mov_b32_e32 v3, v7
	v_pk_fma_f32 v[6:7], v[8:9], 2.0, v[2:3] op_sel_hi:[1,0,1] neg_lo:[0,0,1] neg_hi:[0,0,1]
	global_store_dwordx2 v[0:1], v[6:7], off offset:4080
	v_pk_mul_f32 v[6:7], v[14:15], s[0:1] op_sel_hi:[1,0]
	v_pk_fma_f32 v[8:9], v[14:15], s[0:1], v[4:5] op_sel_hi:[1,0,1]
	s_nop 0
	v_pk_add_f32 v[10:11], v[8:9], v[6:7] op_sel:[0,1] op_sel_hi:[1,0] neg_lo:[0,1] neg_hi:[0,1]
	v_pk_add_f32 v[6:7], v[8:9], v[6:7] op_sel:[0,1] op_sel_hi:[1,0]
	s_nop 0
	v_add_co_u32_e32 v6, vcc, 0x1000, v0
	v_mov_b32_e32 v11, v7
	s_nop 0
	v_addc_co_u32_e32 v7, vcc, 0, v1, vcc
	v_add_co_u32_e32 v0, vcc, 0x2000, v0
	v_pk_fma_f32 v[4:5], v[4:5], 2.0, v[10:11] op_sel_hi:[1,0,1] neg_lo:[0,0,1] neg_hi:[0,0,1]
	s_nop 0
	v_addc_co_u32_e32 v1, vcc, 0, v1, vcc
	global_store_dwordx2 v[6:7], v[4:5], off offset:1616
	global_store_dwordx2 v[6:7], v[12:13], off offset:3248
	;; [unrolled: 1-line block ×5, first 2 shown]
.LBB0_25:
	s_endpgm
	.section	.rodata,"a",@progbits
	.p2align	6, 0x0
	.amdhsa_kernel fft_rtc_fwd_len1632_factors_17_2_2_3_8_wgs_102_tpt_102_halfLds_sp_op_CI_CI_unitstride_sbrr_dirReg
		.amdhsa_group_segment_fixed_size 0
		.amdhsa_private_segment_fixed_size 0
		.amdhsa_kernarg_size 104
		.amdhsa_user_sgpr_count 2
		.amdhsa_user_sgpr_dispatch_ptr 0
		.amdhsa_user_sgpr_queue_ptr 0
		.amdhsa_user_sgpr_kernarg_segment_ptr 1
		.amdhsa_user_sgpr_dispatch_id 0
		.amdhsa_user_sgpr_kernarg_preload_length 0
		.amdhsa_user_sgpr_kernarg_preload_offset 0
		.amdhsa_user_sgpr_private_segment_size 0
		.amdhsa_uses_dynamic_stack 0
		.amdhsa_enable_private_segment 0
		.amdhsa_system_sgpr_workgroup_id_x 1
		.amdhsa_system_sgpr_workgroup_id_y 0
		.amdhsa_system_sgpr_workgroup_id_z 0
		.amdhsa_system_sgpr_workgroup_info 0
		.amdhsa_system_vgpr_workitem_id 0
		.amdhsa_next_free_vgpr 125
		.amdhsa_next_free_sgpr 76
		.amdhsa_accum_offset 128
		.amdhsa_reserve_vcc 1
		.amdhsa_float_round_mode_32 0
		.amdhsa_float_round_mode_16_64 0
		.amdhsa_float_denorm_mode_32 3
		.amdhsa_float_denorm_mode_16_64 3
		.amdhsa_dx10_clamp 1
		.amdhsa_ieee_mode 1
		.amdhsa_fp16_overflow 0
		.amdhsa_tg_split 0
		.amdhsa_exception_fp_ieee_invalid_op 0
		.amdhsa_exception_fp_denorm_src 0
		.amdhsa_exception_fp_ieee_div_zero 0
		.amdhsa_exception_fp_ieee_overflow 0
		.amdhsa_exception_fp_ieee_underflow 0
		.amdhsa_exception_fp_ieee_inexact 0
		.amdhsa_exception_int_div_zero 0
	.end_amdhsa_kernel
	.text
.Lfunc_end0:
	.size	fft_rtc_fwd_len1632_factors_17_2_2_3_8_wgs_102_tpt_102_halfLds_sp_op_CI_CI_unitstride_sbrr_dirReg, .Lfunc_end0-fft_rtc_fwd_len1632_factors_17_2_2_3_8_wgs_102_tpt_102_halfLds_sp_op_CI_CI_unitstride_sbrr_dirReg
                                        ; -- End function
	.section	.AMDGPU.csdata,"",@progbits
; Kernel info:
; codeLenInByte = 12516
; NumSgprs: 82
; NumVgprs: 125
; NumAgprs: 0
; TotalNumVgprs: 125
; ScratchSize: 0
; MemoryBound: 0
; FloatMode: 240
; IeeeMode: 1
; LDSByteSize: 0 bytes/workgroup (compile time only)
; SGPRBlocks: 10
; VGPRBlocks: 15
; NumSGPRsForWavesPerEU: 82
; NumVGPRsForWavesPerEU: 125
; AccumOffset: 128
; Occupancy: 4
; WaveLimiterHint : 1
; COMPUTE_PGM_RSRC2:SCRATCH_EN: 0
; COMPUTE_PGM_RSRC2:USER_SGPR: 2
; COMPUTE_PGM_RSRC2:TRAP_HANDLER: 0
; COMPUTE_PGM_RSRC2:TGID_X_EN: 1
; COMPUTE_PGM_RSRC2:TGID_Y_EN: 0
; COMPUTE_PGM_RSRC2:TGID_Z_EN: 0
; COMPUTE_PGM_RSRC2:TIDIG_COMP_CNT: 0
; COMPUTE_PGM_RSRC3_GFX90A:ACCUM_OFFSET: 31
; COMPUTE_PGM_RSRC3_GFX90A:TG_SPLIT: 0
	.text
	.p2alignl 6, 3212836864
	.fill 256, 4, 3212836864
	.type	__hip_cuid_9282cb9506b72cda,@object ; @__hip_cuid_9282cb9506b72cda
	.section	.bss,"aw",@nobits
	.globl	__hip_cuid_9282cb9506b72cda
__hip_cuid_9282cb9506b72cda:
	.byte	0                               ; 0x0
	.size	__hip_cuid_9282cb9506b72cda, 1

	.ident	"AMD clang version 19.0.0git (https://github.com/RadeonOpenCompute/llvm-project roc-6.4.0 25133 c7fe45cf4b819c5991fe208aaa96edf142730f1d)"
	.section	".note.GNU-stack","",@progbits
	.addrsig
	.addrsig_sym __hip_cuid_9282cb9506b72cda
	.amdgpu_metadata
---
amdhsa.kernels:
  - .agpr_count:     0
    .args:
      - .actual_access:  read_only
        .address_space:  global
        .offset:         0
        .size:           8
        .value_kind:     global_buffer
      - .offset:         8
        .size:           8
        .value_kind:     by_value
      - .actual_access:  read_only
        .address_space:  global
        .offset:         16
        .size:           8
        .value_kind:     global_buffer
      - .actual_access:  read_only
        .address_space:  global
        .offset:         24
        .size:           8
        .value_kind:     global_buffer
      - .actual_access:  read_only
        .address_space:  global
        .offset:         32
        .size:           8
        .value_kind:     global_buffer
      - .offset:         40
        .size:           8
        .value_kind:     by_value
      - .actual_access:  read_only
        .address_space:  global
        .offset:         48
        .size:           8
        .value_kind:     global_buffer
      - .actual_access:  read_only
        .address_space:  global
        .offset:         56
        .size:           8
        .value_kind:     global_buffer
      - .offset:         64
        .size:           4
        .value_kind:     by_value
      - .actual_access:  read_only
        .address_space:  global
        .offset:         72
        .size:           8
        .value_kind:     global_buffer
      - .actual_access:  read_only
        .address_space:  global
        .offset:         80
        .size:           8
        .value_kind:     global_buffer
      - .actual_access:  read_only
        .address_space:  global
        .offset:         88
        .size:           8
        .value_kind:     global_buffer
      - .actual_access:  write_only
        .address_space:  global
        .offset:         96
        .size:           8
        .value_kind:     global_buffer
    .group_segment_fixed_size: 0
    .kernarg_segment_align: 8
    .kernarg_segment_size: 104
    .language:       OpenCL C
    .language_version:
      - 2
      - 0
    .max_flat_workgroup_size: 102
    .name:           fft_rtc_fwd_len1632_factors_17_2_2_3_8_wgs_102_tpt_102_halfLds_sp_op_CI_CI_unitstride_sbrr_dirReg
    .private_segment_fixed_size: 0
    .sgpr_count:     82
    .sgpr_spill_count: 0
    .symbol:         fft_rtc_fwd_len1632_factors_17_2_2_3_8_wgs_102_tpt_102_halfLds_sp_op_CI_CI_unitstride_sbrr_dirReg.kd
    .uniform_work_group_size: 1
    .uses_dynamic_stack: false
    .vgpr_count:     125
    .vgpr_spill_count: 0
    .wavefront_size: 64
amdhsa.target:   amdgcn-amd-amdhsa--gfx950
amdhsa.version:
  - 1
  - 2
...

	.end_amdgpu_metadata
